;; amdgpu-corpus repo=ROCm/rocFFT kind=compiled arch=gfx1030 opt=O3
	.text
	.amdgcn_target "amdgcn-amd-amdhsa--gfx1030"
	.amdhsa_code_object_version 6
	.protected	fft_rtc_back_len1326_factors_17_6_13_wgs_204_tpt_102_halfLds_dp_op_CI_CI_unitstride_sbrr_dirReg ; -- Begin function fft_rtc_back_len1326_factors_17_6_13_wgs_204_tpt_102_halfLds_dp_op_CI_CI_unitstride_sbrr_dirReg
	.globl	fft_rtc_back_len1326_factors_17_6_13_wgs_204_tpt_102_halfLds_dp_op_CI_CI_unitstride_sbrr_dirReg
	.p2align	8
	.type	fft_rtc_back_len1326_factors_17_6_13_wgs_204_tpt_102_halfLds_dp_op_CI_CI_unitstride_sbrr_dirReg,@function
fft_rtc_back_len1326_factors_17_6_13_wgs_204_tpt_102_halfLds_dp_op_CI_CI_unitstride_sbrr_dirReg: ; @fft_rtc_back_len1326_factors_17_6_13_wgs_204_tpt_102_halfLds_dp_op_CI_CI_unitstride_sbrr_dirReg
; %bb.0:
	s_clause 0x2
	s_load_dwordx4 s[12:15], s[4:5], 0x0
	s_load_dwordx4 s[8:11], s[4:5], 0x58
	;; [unrolled: 1-line block ×3, first 2 shown]
	v_mul_u32_u24_e32 v1, 0x283, v0
	v_mov_b32_e32 v8, 0
	v_mov_b32_e32 v9, 0
	v_lshrrev_b32_e32 v196, 16, v1
	v_mov_b32_e32 v1, 0
	v_lshl_add_u32 v3, s6, 1, v196
	v_mov_b32_e32 v4, v1
	s_waitcnt lgkmcnt(0)
	v_cmp_lt_u64_e64 s0, s[14:15], 2
	s_and_b32 vcc_lo, exec_lo, s0
	s_cbranch_vccnz .LBB0_8
; %bb.1:
	s_load_dwordx2 s[0:1], s[4:5], 0x10
	v_mov_b32_e32 v8, 0
	v_mov_b32_e32 v9, 0
	s_add_u32 s2, s18, 8
	s_addc_u32 s3, s19, 0
	s_add_u32 s6, s16, 8
	s_addc_u32 s7, s17, 0
	v_mov_b32_e32 v109, v9
	v_mov_b32_e32 v108, v8
	s_mov_b64 s[22:23], 1
	s_waitcnt lgkmcnt(0)
	s_add_u32 s20, s0, 8
	s_addc_u32 s21, s1, 0
.LBB0_2:                                ; =>This Inner Loop Header: Depth=1
	s_load_dwordx2 s[24:25], s[20:21], 0x0
                                        ; implicit-def: $vgpr110_vgpr111
	s_mov_b32 s0, exec_lo
	s_waitcnt lgkmcnt(0)
	v_or_b32_e32 v2, s25, v4
	v_cmpx_ne_u64_e32 0, v[1:2]
	s_xor_b32 s1, exec_lo, s0
	s_cbranch_execz .LBB0_4
; %bb.3:                                ;   in Loop: Header=BB0_2 Depth=1
	v_cvt_f32_u32_e32 v2, s24
	v_cvt_f32_u32_e32 v5, s25
	s_sub_u32 s0, 0, s24
	s_subb_u32 s26, 0, s25
	v_fmac_f32_e32 v2, 0x4f800000, v5
	v_rcp_f32_e32 v2, v2
	v_mul_f32_e32 v2, 0x5f7ffffc, v2
	v_mul_f32_e32 v5, 0x2f800000, v2
	v_trunc_f32_e32 v5, v5
	v_fmac_f32_e32 v2, 0xcf800000, v5
	v_cvt_u32_f32_e32 v5, v5
	v_cvt_u32_f32_e32 v2, v2
	v_mul_lo_u32 v6, s0, v5
	v_mul_hi_u32 v7, s0, v2
	v_mul_lo_u32 v10, s26, v2
	v_add_nc_u32_e32 v6, v7, v6
	v_mul_lo_u32 v7, s0, v2
	v_add_nc_u32_e32 v6, v6, v10
	v_mul_hi_u32 v10, v2, v7
	v_mul_lo_u32 v11, v2, v6
	v_mul_hi_u32 v12, v2, v6
	v_mul_hi_u32 v13, v5, v7
	v_mul_lo_u32 v7, v5, v7
	v_mul_hi_u32 v14, v5, v6
	v_mul_lo_u32 v6, v5, v6
	v_add_co_u32 v10, vcc_lo, v10, v11
	v_add_co_ci_u32_e32 v11, vcc_lo, 0, v12, vcc_lo
	v_add_co_u32 v7, vcc_lo, v10, v7
	v_add_co_ci_u32_e32 v7, vcc_lo, v11, v13, vcc_lo
	v_add_co_ci_u32_e32 v10, vcc_lo, 0, v14, vcc_lo
	v_add_co_u32 v6, vcc_lo, v7, v6
	v_add_co_ci_u32_e32 v7, vcc_lo, 0, v10, vcc_lo
	v_add_co_u32 v2, vcc_lo, v2, v6
	v_add_co_ci_u32_e32 v5, vcc_lo, v5, v7, vcc_lo
	v_mul_hi_u32 v6, s0, v2
	v_mul_lo_u32 v10, s26, v2
	v_mul_lo_u32 v7, s0, v5
	v_add_nc_u32_e32 v6, v6, v7
	v_mul_lo_u32 v7, s0, v2
	v_add_nc_u32_e32 v6, v6, v10
	v_mul_hi_u32 v10, v2, v7
	v_mul_lo_u32 v11, v2, v6
	v_mul_hi_u32 v12, v2, v6
	v_mul_hi_u32 v13, v5, v7
	v_mul_lo_u32 v7, v5, v7
	v_mul_hi_u32 v14, v5, v6
	v_mul_lo_u32 v6, v5, v6
	v_add_co_u32 v10, vcc_lo, v10, v11
	v_add_co_ci_u32_e32 v11, vcc_lo, 0, v12, vcc_lo
	v_add_co_u32 v7, vcc_lo, v10, v7
	v_add_co_ci_u32_e32 v7, vcc_lo, v11, v13, vcc_lo
	v_add_co_ci_u32_e32 v10, vcc_lo, 0, v14, vcc_lo
	v_add_co_u32 v6, vcc_lo, v7, v6
	v_add_co_ci_u32_e32 v7, vcc_lo, 0, v10, vcc_lo
	v_add_co_u32 v2, vcc_lo, v2, v6
	v_add_co_ci_u32_e32 v7, vcc_lo, v5, v7, vcc_lo
	v_mul_hi_u32 v14, v3, v2
	v_mad_u64_u32 v[10:11], null, v4, v2, 0
	v_mad_u64_u32 v[5:6], null, v3, v7, 0
	v_mad_u64_u32 v[12:13], null, v4, v7, 0
	v_add_co_u32 v2, vcc_lo, v14, v5
	v_add_co_ci_u32_e32 v5, vcc_lo, 0, v6, vcc_lo
	v_add_co_u32 v2, vcc_lo, v2, v10
	v_add_co_ci_u32_e32 v2, vcc_lo, v5, v11, vcc_lo
	v_add_co_ci_u32_e32 v5, vcc_lo, 0, v13, vcc_lo
	v_add_co_u32 v2, vcc_lo, v2, v12
	v_add_co_ci_u32_e32 v7, vcc_lo, 0, v5, vcc_lo
	v_mul_lo_u32 v10, s25, v2
	v_mad_u64_u32 v[5:6], null, s24, v2, 0
	v_mul_lo_u32 v11, s24, v7
	v_sub_co_u32 v5, vcc_lo, v3, v5
	v_add3_u32 v6, v6, v11, v10
	v_sub_nc_u32_e32 v10, v4, v6
	v_subrev_co_ci_u32_e64 v10, s0, s25, v10, vcc_lo
	v_add_co_u32 v11, s0, v2, 2
	v_add_co_ci_u32_e64 v12, s0, 0, v7, s0
	v_sub_co_u32 v13, s0, v5, s24
	v_sub_co_ci_u32_e32 v6, vcc_lo, v4, v6, vcc_lo
	v_subrev_co_ci_u32_e64 v10, s0, 0, v10, s0
	v_cmp_le_u32_e32 vcc_lo, s24, v13
	v_cmp_eq_u32_e64 s0, s25, v6
	v_cndmask_b32_e64 v13, 0, -1, vcc_lo
	v_cmp_le_u32_e32 vcc_lo, s25, v10
	v_cndmask_b32_e64 v14, 0, -1, vcc_lo
	v_cmp_le_u32_e32 vcc_lo, s24, v5
	;; [unrolled: 2-line block ×3, first 2 shown]
	v_cndmask_b32_e64 v15, 0, -1, vcc_lo
	v_cmp_eq_u32_e32 vcc_lo, s25, v10
	v_cndmask_b32_e64 v5, v15, v5, s0
	v_cndmask_b32_e32 v10, v14, v13, vcc_lo
	v_add_co_u32 v13, vcc_lo, v2, 1
	v_add_co_ci_u32_e32 v14, vcc_lo, 0, v7, vcc_lo
	v_cmp_ne_u32_e32 vcc_lo, 0, v10
	v_cndmask_b32_e32 v6, v14, v12, vcc_lo
	v_cndmask_b32_e32 v10, v13, v11, vcc_lo
	v_cmp_ne_u32_e32 vcc_lo, 0, v5
	v_cndmask_b32_e32 v111, v7, v6, vcc_lo
	v_cndmask_b32_e32 v110, v2, v10, vcc_lo
.LBB0_4:                                ;   in Loop: Header=BB0_2 Depth=1
	s_andn2_saveexec_b32 s0, s1
	s_cbranch_execz .LBB0_6
; %bb.5:                                ;   in Loop: Header=BB0_2 Depth=1
	v_cvt_f32_u32_e32 v2, s24
	s_sub_i32 s1, 0, s24
	v_mov_b32_e32 v111, v1
	v_rcp_iflag_f32_e32 v2, v2
	v_mul_f32_e32 v2, 0x4f7ffffe, v2
	v_cvt_u32_f32_e32 v2, v2
	v_mul_lo_u32 v5, s1, v2
	v_mul_hi_u32 v5, v2, v5
	v_add_nc_u32_e32 v2, v2, v5
	v_mul_hi_u32 v2, v3, v2
	v_mul_lo_u32 v5, v2, s24
	v_add_nc_u32_e32 v6, 1, v2
	v_sub_nc_u32_e32 v5, v3, v5
	v_subrev_nc_u32_e32 v7, s24, v5
	v_cmp_le_u32_e32 vcc_lo, s24, v5
	v_cndmask_b32_e32 v5, v5, v7, vcc_lo
	v_cndmask_b32_e32 v2, v2, v6, vcc_lo
	v_cmp_le_u32_e32 vcc_lo, s24, v5
	v_add_nc_u32_e32 v6, 1, v2
	v_cndmask_b32_e32 v110, v2, v6, vcc_lo
.LBB0_6:                                ;   in Loop: Header=BB0_2 Depth=1
	s_or_b32 exec_lo, exec_lo, s0
	v_mul_lo_u32 v2, v111, s24
	v_mul_lo_u32 v7, v110, s25
	s_load_dwordx2 s[0:1], s[6:7], 0x0
	v_mad_u64_u32 v[5:6], null, v110, s24, 0
	s_load_dwordx2 s[24:25], s[2:3], 0x0
	s_add_u32 s22, s22, 1
	s_addc_u32 s23, s23, 0
	s_add_u32 s2, s2, 8
	s_addc_u32 s3, s3, 0
	s_add_u32 s6, s6, 8
	v_add3_u32 v2, v6, v7, v2
	v_sub_co_u32 v3, vcc_lo, v3, v5
	s_addc_u32 s7, s7, 0
	s_add_u32 s20, s20, 8
	v_sub_co_ci_u32_e32 v2, vcc_lo, v4, v2, vcc_lo
	s_addc_u32 s21, s21, 0
	s_waitcnt lgkmcnt(0)
	v_mul_lo_u32 v4, s0, v2
	v_mul_lo_u32 v5, s1, v3
	v_mad_u64_u32 v[8:9], null, s0, v3, v[8:9]
	v_mul_lo_u32 v2, s24, v2
	v_mul_lo_u32 v6, s25, v3
	v_mad_u64_u32 v[108:109], null, s24, v3, v[108:109]
	v_cmp_ge_u64_e64 s0, s[22:23], s[14:15]
	v_add3_u32 v9, v5, v9, v4
	v_add3_u32 v109, v6, v109, v2
	s_and_b32 vcc_lo, exec_lo, s0
	s_cbranch_vccnz .LBB0_9
; %bb.7:                                ;   in Loop: Header=BB0_2 Depth=1
	v_mov_b32_e32 v3, v110
	v_mov_b32_e32 v4, v111
	s_branch .LBB0_2
.LBB0_8:
	v_mov_b32_e32 v109, v9
	v_mov_b32_e32 v111, v4
	;; [unrolled: 1-line block ×4, first 2 shown]
.LBB0_9:
	s_load_dwordx2 s[0:1], s[4:5], 0x28
	s_lshl_b64 s[4:5], s[14:15], 3
	v_mul_hi_u32 v1, 0x2828283, v0
	s_add_u32 s2, s18, s4
	s_addc_u32 s3, s19, s5
	v_mov_b32_e32 v112, 0
	s_load_dwordx2 s[2:3], s[2:3], 0x0
                                        ; implicit-def: $vgpr2_vgpr3
                                        ; implicit-def: $vgpr22_vgpr23
                                        ; implicit-def: $vgpr26_vgpr27
                                        ; implicit-def: $vgpr30_vgpr31
                                        ; implicit-def: $vgpr34_vgpr35
                                        ; implicit-def: $vgpr38_vgpr39
                                        ; implicit-def: $vgpr46_vgpr47
                                        ; implicit-def: $vgpr42_vgpr43
                                        ; implicit-def: $vgpr54_vgpr55
                                        ; implicit-def: $vgpr58_vgpr59
                                        ; implicit-def: $vgpr62_vgpr63
                                        ; implicit-def: $vgpr78_vgpr79
                                        ; implicit-def: $vgpr74_vgpr75
                                        ; implicit-def: $vgpr70_vgpr71
                                        ; implicit-def: $vgpr66_vgpr67
                                        ; implicit-def: $vgpr50_vgpr51
                                        ; implicit-def: $vgpr6_vgpr7
	v_mul_u32_u24_e32 v1, 0x66, v1
	v_sub_nc_u32_e32 v113, v0, v1
	s_waitcnt lgkmcnt(0)
	v_cmp_gt_u64_e32 vcc_lo, s[0:1], v[110:111]
	s_and_saveexec_b32 s1, vcc_lo
	s_cbranch_execz .LBB0_13
; %bb.10:
	s_mov_b32 s6, exec_lo
                                        ; implicit-def: $vgpr4_vgpr5
                                        ; implicit-def: $vgpr48_vgpr49
                                        ; implicit-def: $vgpr64_vgpr65
                                        ; implicit-def: $vgpr68_vgpr69
                                        ; implicit-def: $vgpr72_vgpr73
                                        ; implicit-def: $vgpr76_vgpr77
                                        ; implicit-def: $vgpr60_vgpr61
                                        ; implicit-def: $vgpr56_vgpr57
                                        ; implicit-def: $vgpr52_vgpr53
                                        ; implicit-def: $vgpr40_vgpr41
                                        ; implicit-def: $vgpr44_vgpr45
                                        ; implicit-def: $vgpr36_vgpr37
                                        ; implicit-def: $vgpr32_vgpr33
                                        ; implicit-def: $vgpr28_vgpr29
                                        ; implicit-def: $vgpr24_vgpr25
                                        ; implicit-def: $vgpr20_vgpr21
                                        ; implicit-def: $vgpr0_vgpr1
	v_cmpx_gt_u32_e32 0x4e, v113
	s_cbranch_execz .LBB0_12
; %bb.11:
	s_add_u32 s4, s16, s4
	s_addc_u32 s5, s17, s5
	v_mov_b32_e32 v114, 0
	s_load_dwordx2 s[4:5], s[4:5], 0x0
	s_waitcnt lgkmcnt(0)
	v_mul_lo_u32 v2, s5, v110
	v_mul_lo_u32 v3, s4, v111
	v_mad_u64_u32 v[0:1], null, s4, v110, 0
	v_add3_u32 v1, v1, v3, v2
	v_lshlrev_b64 v[2:3], 4, v[8:9]
	v_lshlrev_b64 v[0:1], 4, v[0:1]
	v_add_co_u32 v4, s0, s8, v0
	v_add_co_ci_u32_e64 v5, s0, s9, v1, s0
	v_lshlrev_b64 v[0:1], 4, v[113:114]
	v_add_co_u32 v2, s0, v4, v2
	v_add_co_ci_u32_e64 v3, s0, v5, v3, s0
	v_add_co_u32 v0, s0, v2, v0
	v_add_co_ci_u32_e64 v1, s0, v3, v1, s0
	s_clause 0x1
	global_load_dwordx4 v[4:7], v[0:1], off
	global_load_dwordx4 v[48:51], v[0:1], off offset:1248
	v_add_co_u32 v2, s0, 0x800, v0
	v_add_co_ci_u32_e64 v3, s0, 0, v1, s0
	v_add_co_u32 v8, s0, 0x1000, v0
	v_add_co_ci_u32_e64 v9, s0, 0, v1, s0
	;; [unrolled: 2-line block ×7, first 2 shown]
	s_clause 0x7
	global_load_dwordx4 v[64:67], v[2:3], off offset:448
	global_load_dwordx4 v[68:71], v[2:3], off offset:1696
	;; [unrolled: 1-line block ×8, first 2 shown]
	v_add_co_u32 v2, s0, 0x4000, v0
	v_add_co_ci_u32_e64 v3, s0, 0, v1, s0
	v_add_co_u32 v0, s0, 0x4800, v0
	v_add_co_ci_u32_e64 v1, s0, 0, v1, s0
	s_clause 0x6
	global_load_dwordx4 v[44:47], v[16:17], off offset:192
	global_load_dwordx4 v[36:39], v[16:17], off offset:1440
	;; [unrolled: 1-line block ×7, first 2 shown]
.LBB0_12:
	s_or_b32 exec_lo, exec_lo, s6
	v_mov_b32_e32 v112, v113
.LBB0_13:
	s_or_b32 exec_lo, exec_lo, s1
	s_waitcnt vmcnt(0)
	v_add_f64 v[80:81], v[50:51], -v[2:3]
	s_mov_b32 s4, 0x2a9d6da3
	s_mov_b32 s14, 0xeb564b22
	;; [unrolled: 1-line block ×10, first 2 shown]
	v_add_f64 v[18:19], v[0:1], v[48:49]
	v_add_f64 v[84:85], v[66:67], -v[22:23]
	s_mov_b32 s8, 0x75d4884
	s_mov_b32 s16, 0x3259b75e
	;; [unrolled: 1-line block ×9, first 2 shown]
	v_mul_f64 v[86:87], v[80:81], s[4:5]
	v_mul_f64 v[88:89], v[80:81], s[6:7]
	;; [unrolled: 1-line block ×5, first 2 shown]
	s_mov_b32 s17, 0x3fb79ee6
	s_mov_b32 s19, 0x3fdc86fa
	;; [unrolled: 1-line block ×7, first 2 shown]
	v_add_f64 v[82:83], v[20:21], v[64:65]
	v_add_f64 v[150:151], v[70:71], -v[26:27]
	v_mul_f64 v[154:155], v[84:85], s[14:15]
	v_mul_f64 v[160:161], v[84:85], s[30:31]
	;; [unrolled: 1-line block ×5, first 2 shown]
	s_mov_b32 s22, 0x6ed5f1bb
	s_mov_b32 s38, 0x7faef3
	;; [unrolled: 1-line block ×3, first 2 shown]
	v_fma_f64 v[8:9], v[18:19], s[8:9], -v[86:87]
	v_fma_f64 v[10:11], v[18:19], s[18:19], -v[88:89]
	;; [unrolled: 1-line block ×5, first 2 shown]
	s_mov_b32 s23, 0xbfe348c8
	s_mov_b32 s35, 0x3fc7851a
	s_mov_b32 s39, 0xbfef7484
	s_mov_b32 s29, 0x3feec746
	s_mov_b32 s51, 0xbfeb34fa
	s_mov_b32 s37, 0x3fe58eea
	s_mov_b32 s34, s26
	s_mov_b32 s28, s20
	s_mov_b32 s36, s4
	v_add_f64 v[98:99], v[24:25], v[68:69]
	v_add_f64 v[184:185], v[74:75], -v[30:31]
	v_mul_f64 v[164:165], v[150:151], s[30:31]
	v_mul_f64 v[170:171], v[150:151], s[34:35]
	v_fma_f64 v[90:91], v[82:83], s[16:17], -v[154:155]
	v_fma_f64 v[94:95], v[82:83], s[22:23], -v[160:161]
	;; [unrolled: 1-line block ×4, first 2 shown]
	v_add_f64 v[8:9], v[4:5], v[8:9]
	v_add_f64 v[10:11], v[4:5], v[10:11]
	;; [unrolled: 1-line block ×4, first 2 shown]
	v_mul_f64 v[182:183], v[150:151], s[28:29]
	v_mul_f64 v[190:191], v[150:151], s[36:37]
	v_fma_f64 v[106:107], v[82:83], s[8:9], -v[152:153]
	v_mul_f64 v[166:167], v[150:151], s[6:7]
	v_add_f64 v[16:17], v[4:5], v[16:17]
	s_mov_b32 s49, 0x3fd71e95
	s_mov_b32 s48, s24
	v_add_f64 v[180:181], v[28:29], v[72:73]
	v_add_f64 v[100:101], v[78:79], -v[34:35]
	v_add_f64 v[158:159], v[32:33], v[76:77]
	s_mov_b32 s57, 0xbfe0d888
	v_mul_f64 v[178:179], v[184:185], s[26:27]
	v_mul_f64 v[186:187], v[184:185], s[28:29]
	;; [unrolled: 1-line block ×5, first 2 shown]
	v_fma_f64 v[114:115], v[98:99], s[22:23], -v[164:165]
	v_fma_f64 v[116:117], v[98:99], s[38:39], -v[170:171]
	v_add_f64 v[8:9], v[90:91], v[8:9]
	v_add_f64 v[10:11], v[94:95], v[10:11]
	;; [unrolled: 1-line block ×4, first 2 shown]
	v_fma_f64 v[90:91], v[98:99], s[42:43], -v[182:183]
	v_fma_f64 v[94:95], v[98:99], s[8:9], -v[190:191]
	v_add_f64 v[96:97], v[62:63], -v[38:39]
	v_fma_f64 v[104:105], v[98:99], s[18:19], -v[166:167]
	v_add_f64 v[16:17], v[106:107], v[16:17]
	s_mov_b32 s41, 0x3fefdd0d
	s_mov_b32 s56, s54
	;; [unrolled: 1-line block ×3, first 2 shown]
	v_mul_f64 v[106:107], v[100:101], s[54:55]
	v_mul_f64 v[118:119], v[100:101], s[36:37]
	;; [unrolled: 1-line block ×5, first 2 shown]
	v_fma_f64 v[120:121], v[180:181], s[38:39], -v[178:179]
	v_fma_f64 v[122:123], v[180:181], s[42:43], -v[186:187]
	;; [unrolled: 1-line block ×5, first 2 shown]
	v_add_f64 v[8:9], v[114:115], v[8:9]
	v_add_f64 v[10:11], v[116:117], v[10:11]
	;; [unrolled: 1-line block ×3, first 2 shown]
	s_mov_b32 s45, 0x3feca52d
	v_add_f64 v[12:13], v[90:91], v[12:13]
	v_add_f64 v[14:15], v[94:95], v[14:15]
	v_add_f64 v[90:91], v[58:59], -v[46:47]
	v_mul_f64 v[116:117], v[96:97], s[28:29]
	v_add_f64 v[16:17], v[104:105], v[16:17]
	v_mul_f64 v[124:125], v[96:97], s[24:25]
	v_mul_f64 v[134:135], v[96:97], s[56:57]
	;; [unrolled: 1-line block ×4, first 2 shown]
	v_fma_f64 v[104:105], v[158:159], s[50:51], -v[106:107]
	v_fma_f64 v[114:115], v[158:159], s[8:9], -v[118:119]
	;; [unrolled: 1-line block ×5, first 2 shown]
	s_mov_b32 s53, 0x3fe9895b
	s_mov_b32 s44, s6
	;; [unrolled: 1-line block ×3, first 2 shown]
	v_add_f64 v[176:177], v[44:45], v[56:57]
	v_add_f64 v[8:9], v[120:121], v[8:9]
	;; [unrolled: 1-line block ×3, first 2 shown]
	v_add_f64 v[94:95], v[54:55], -v[42:43]
	v_and_b32_e32 v196, 1, v196
	v_add_f64 v[12:13], v[128:129], v[12:13]
	v_add_f64 v[14:15], v[130:131], v[14:15]
	v_mul_f64 v[120:121], v[90:91], s[44:45]
	v_mul_f64 v[128:129], v[90:91], s[14:15]
	v_add_f64 v[16:17], v[136:137], v[16:17]
	v_mul_f64 v[142:143], v[90:91], s[52:53]
	v_mul_f64 v[148:149], v[90:91], s[24:25]
	;; [unrolled: 1-line block ×3, first 2 shown]
	v_fma_f64 v[201:202], v[162:163], s[42:43], -v[116:117]
	v_fma_f64 v[203:204], v[162:163], s[46:47], -v[124:125]
	;; [unrolled: 1-line block ×5, first 2 shown]
	v_cmp_eq_u32_e64 s0, 1, v196
	v_cmp_gt_u32_e64 s1, 0x4e, v113
	v_cndmask_b32_e64 v196, 0, 0x52e, s0
	v_add_f64 v[8:9], v[104:105], v[8:9]
	v_add_f64 v[10:11], v[114:115], v[10:11]
	v_mul_f64 v[104:105], v[94:95], s[48:49]
	v_add_f64 v[12:13], v[188:189], v[12:13]
	v_add_f64 v[14:15], v[197:198], v[14:15]
	;; [unrolled: 1-line block ×3, first 2 shown]
	v_mul_f64 v[114:115], v[94:95], s[56:57]
	v_add_f64 v[16:17], v[199:200], v[16:17]
	v_mul_f64 v[122:123], v[94:95], s[36:37]
	v_mul_f64 v[130:131], v[94:95], s[30:31]
	;; [unrolled: 1-line block ×3, first 2 shown]
	v_fma_f64 v[197:198], v[176:177], s[18:19], -v[120:121]
	v_fma_f64 v[199:200], v[176:177], s[16:17], -v[128:129]
	;; [unrolled: 1-line block ×5, first 2 shown]
	v_add_f64 v[8:9], v[201:202], v[8:9]
	v_add_f64 v[10:11], v[203:204], v[10:11]
	;; [unrolled: 1-line block ×4, first 2 shown]
	v_fma_f64 v[201:202], v[188:189], s[46:47], -v[104:105]
	v_fma_f64 v[203:204], v[188:189], s[50:51], -v[114:115]
	v_add_f64 v[16:17], v[209:210], v[16:17]
	v_fma_f64 v[205:206], v[188:189], s[8:9], -v[122:123]
	v_fma_f64 v[207:208], v[188:189], s[22:23], -v[130:131]
	;; [unrolled: 1-line block ×3, first 2 shown]
	v_add_f64 v[8:9], v[197:198], v[8:9]
	v_add_f64 v[10:11], v[199:200], v[10:11]
	;; [unrolled: 1-line block ×9, first 2 shown]
	v_lshlrev_b32_e32 v200, 3, v196
	v_add_f64 v[16:17], v[209:210], v[16:17]
	s_and_saveexec_b32 s0, s1
	s_cbranch_execz .LBB0_15
; %bb.14:
	v_add_f64 v[196:197], v[48:49], v[4:5]
	v_mul_f64 v[198:199], v[180:181], s[8:9]
	v_mul_f64 v[201:202], v[98:99], s[50:51]
	;; [unrolled: 1-line block ×18, first 2 shown]
	v_add_f64 v[196:197], v[64:65], v[196:197]
	v_fma_f64 v[235:236], v[184:185], s[4:5], v[198:199]
	v_fma_f64 v[237:238], v[150:151], s[54:55], v[201:202]
	;; [unrolled: 1-line block ×21, first 2 shown]
	v_add_f64 v[196:197], v[68:69], v[196:197]
	v_fma_f64 v[84:85], v[84:85], s[28:29], v[231:232]
	v_fma_f64 v[231:232], v[80:81], s[52:53], v[233:234]
	;; [unrolled: 1-line block ×3, first 2 shown]
	v_mul_f64 v[233:234], v[82:83], s[38:39]
	v_add_f64 v[190:191], v[190:191], v[221:222]
	v_mul_f64 v[221:222], v[180:181], s[42:43]
	v_add_f64 v[192:193], v[192:193], v[223:224]
	;; [unrolled: 2-line block ×6, first 2 shown]
	v_add_f64 v[205:206], v[4:5], v[205:206]
	v_add_f64 v[249:250], v[4:5], v[249:250]
	;; [unrolled: 1-line block ×4, first 2 shown]
	v_mul_f64 v[219:220], v[180:181], s[38:39]
	v_mul_f64 v[180:181], v[180:181], s[16:17]
	v_add_f64 v[196:197], v[72:73], v[196:197]
	v_add_f64 v[231:232], v[4:5], v[231:232]
	;; [unrolled: 1-line block ×4, first 2 shown]
	v_mul_f64 v[233:234], v[18:19], s[8:9]
	v_mul_f64 v[18:19], v[18:19], s[46:47]
	v_add_f64 v[186:187], v[186:187], v[221:222]
	v_mul_f64 v[221:222], v[82:83], s[16:17]
	v_add_f64 v[88:89], v[88:89], v[223:224]
	v_add_f64 v[92:93], v[92:93], v[227:228]
	v_mul_f64 v[82:83], v[82:83], s[8:9]
	v_mul_f64 v[227:228], v[98:99], s[22:23]
	v_add_f64 v[160:161], v[160:161], v[207:208]
	v_add_f64 v[102:103], v[4:5], v[102:103]
	v_mul_f64 v[98:99], v[98:99], s[18:19]
	v_add_f64 v[170:171], v[170:171], v[217:218]
	v_add_f64 v[203:204], v[203:204], v[205:206]
	;; [unrolled: 1-line block ×3, first 2 shown]
	v_mul_f64 v[207:208], v[158:159], s[50:51]
	v_mul_f64 v[223:224], v[158:159], s[8:9]
	v_add_f64 v[178:179], v[178:179], v[219:220]
	v_add_f64 v[196:197], v[76:77], v[196:197]
	v_mul_f64 v[219:220], v[158:159], s[18:19]
	v_add_f64 v[229:230], v[229:230], v[231:232]
	v_add_f64 v[80:81], v[84:85], v[80:81]
	;; [unrolled: 3-line block ×4, first 2 shown]
	v_add_f64 v[92:93], v[4:5], v[92:93]
	v_add_f64 v[82:83], v[152:153], v[82:83]
	;; [unrolled: 1-line block ×6, first 2 shown]
	v_mul_f64 v[227:228], v[162:163], s[42:43]
	v_add_f64 v[201:202], v[201:202], v[203:204]
	v_mul_f64 v[203:204], v[158:159], s[46:47]
	v_add_f64 v[211:212], v[211:212], v[213:214]
	;; [unrolled: 2-line block ×3, first 2 shown]
	v_add_f64 v[196:197], v[60:61], v[196:197]
	v_add_f64 v[106:107], v[106:107], v[207:208]
	;; [unrolled: 1-line block ×4, first 2 shown]
	v_mul_f64 v[180:181], v[162:163], s[50:51]
	v_add_f64 v[86:87], v[4:5], v[86:87]
	v_add_f64 v[4:5], v[4:5], v[18:19]
	;; [unrolled: 1-line block ×6, first 2 shown]
	v_mul_f64 v[166:167], v[162:163], s[16:17]
	v_add_f64 v[138:139], v[138:139], v[233:234]
	v_add_f64 v[126:127], v[126:127], v[219:220]
	;; [unrolled: 1-line block ×3, first 2 shown]
	v_mul_f64 v[156:157], v[162:163], s[22:23]
	v_mul_f64 v[190:191], v[162:163], s[38:39]
	v_add_f64 v[198:199], v[198:199], v[201:202]
	v_add_f64 v[132:133], v[132:133], v[217:218]
	;; [unrolled: 1-line block ×3, first 2 shown]
	v_mul_f64 v[239:240], v[176:177], s[18:19]
	v_mul_f64 v[205:206], v[176:177], s[16:17]
	v_add_f64 v[196:197], v[56:57], v[196:197]
	v_add_f64 v[124:125], v[124:125], v[221:222]
	;; [unrolled: 1-line block ×4, first 2 shown]
	v_mul_f64 v[247:248], v[176:177], s[22:23]
	v_add_f64 v[86:87], v[154:155], v[86:87]
	v_add_f64 v[4:5], v[82:83], v[4:5]
	v_mul_f64 v[82:83], v[158:159], s[22:23]
	v_add_f64 v[241:242], v[245:246], v[241:242]
	v_add_f64 v[88:89], v[170:171], v[88:89]
	v_add_f64 v[92:93], v[182:183], v[92:93]
	v_mul_f64 v[158:159], v[158:159], s[16:17]
	v_add_f64 v[18:19], v[237:238], v[18:19]
	v_mul_f64 v[245:246], v[162:163], s[18:19]
	v_add_f64 v[102:103], v[194:195], v[102:103]
	v_mul_f64 v[162:163], v[162:163], s[8:9]
	v_mul_f64 v[215:216], v[176:177], s[46:47]
	v_add_f64 v[144:145], v[144:145], v[166:167]
	v_add_f64 v[134:135], v[134:135], v[180:181]
	v_mul_f64 v[152:153], v[176:177], s[50:51]
	v_mul_f64 v[154:155], v[176:177], s[42:43]
	;; [unrolled: 1-line block ×3, first 2 shown]
	v_add_f64 v[196:197], v[52:53], v[196:197]
	v_mul_f64 v[176:177], v[176:177], s[38:39]
	v_fma_f64 v[184:185], v[96:97], s[34:35], v[190:191]
	v_add_f64 v[140:141], v[140:141], v[156:157]
	v_mul_f64 v[84:85], v[188:189], s[46:47]
	v_add_f64 v[86:87], v[164:165], v[86:87]
	v_add_f64 v[4:5], v[98:99], v[4:5]
	v_fma_f64 v[164:165], v[100:101], s[52:53], v[82:83]
	v_fma_f64 v[82:83], v[100:101], s[30:31], v[82:83]
	v_add_f64 v[88:89], v[186:187], v[88:89]
	v_add_f64 v[92:93], v[192:193], v[92:93]
	v_fma_f64 v[229:230], v[100:101], s[14:15], v[158:159]
	v_add_f64 v[201:202], v[243:244], v[241:242]
	v_add_f64 v[18:19], v[235:236], v[18:19]
	;; [unrolled: 1-line block ×3, first 2 shown]
	v_fma_f64 v[186:187], v[96:97], s[26:27], v[190:191]
	v_fma_f64 v[190:191], v[96:97], s[36:37], v[162:163]
	v_mul_f64 v[174:175], v[188:189], s[50:51]
	v_add_f64 v[128:129], v[128:129], v[205:206]
	v_add_f64 v[120:121], v[120:121], v[239:240]
	v_mul_f64 v[168:169], v[188:189], s[8:9]
	v_mul_f64 v[237:238], v[188:189], s[22:23]
	v_add_f64 v[196:197], v[40:41], v[196:197]
	v_add_f64 v[138:139], v[148:149], v[215:216]
	;; [unrolled: 1-line block ×3, first 2 shown]
	v_mul_f64 v[231:232], v[188:189], s[38:39]
	v_mul_f64 v[160:161], v[188:189], s[16:17]
	v_add_f64 v[86:87], v[178:179], v[86:87]
	v_add_f64 v[178:179], v[251:252], v[225:226]
	;; [unrolled: 1-line block ×3, first 2 shown]
	v_fma_f64 v[172:173], v[96:97], s[44:45], v[245:246]
	v_add_f64 v[88:89], v[118:119], v[88:89]
	v_add_f64 v[92:93], v[126:127], v[92:93]
	v_add_f64 v[82:83], v[82:83], v[198:199]
	v_mul_f64 v[213:214], v[188:189], s[42:43]
	v_add_f64 v[18:19], v[164:165], v[18:19]
	v_add_f64 v[102:103], v[144:145], v[102:103]
	v_mul_f64 v[188:189], v[188:189], s[18:19]
	v_fma_f64 v[170:171], v[90:91], s[28:29], v[154:155]
	v_fma_f64 v[118:119], v[90:91], s[4:5], v[150:151]
	;; [unrolled: 1-line block ×3, first 2 shown]
	v_add_f64 v[146:147], v[146:147], v[152:153]
	v_add_f64 v[114:115], v[114:115], v[174:175]
	;; [unrolled: 1-line block ×7, first 2 shown]
	v_fma_f64 v[182:183], v[94:95], s[14:15], v[160:161]
	v_add_f64 v[86:87], v[106:107], v[86:87]
	v_fma_f64 v[106:107], v[90:91], s[20:21], v[154:155]
	v_add_f64 v[4:5], v[132:133], v[4:5]
	v_fma_f64 v[132:133], v[90:91], s[34:35], v[176:177]
	v_add_f64 v[88:89], v[124:125], v[88:89]
	v_add_f64 v[92:93], v[134:135], v[92:93]
	v_fma_f64 v[90:91], v[90:91], s[26:27], v[176:177]
	v_add_f64 v[82:83], v[172:173], v[82:83]
	v_fma_f64 v[124:125], v[94:95], s[20:21], v[213:214]
	;; [unrolled: 2-line block ×4, first 2 shown]
	v_fma_f64 v[203:204], v[100:101], s[24:25], v[203:204]
	v_fma_f64 v[100:101], v[100:101], s[40:41], v[158:159]
	;; [unrolled: 1-line block ×4, first 2 shown]
	v_add_f64 v[86:87], v[116:117], v[86:87]
	v_add_f64 v[4:5], v[140:141], v[4:5]
	v_fma_f64 v[116:117], v[94:95], s[28:29], v[213:214]
	v_add_f64 v[88:89], v[128:129], v[88:89]
	v_add_f64 v[92:93], v[142:143], v[92:93]
	;; [unrolled: 1-line block ×18, first 2 shown]
	v_fma_f64 v[100:101], v[94:95], s[40:41], v[160:161]
	v_fma_f64 v[94:95], v[94:95], s[44:45], v[188:189]
	v_add_f64 v[18:19], v[170:171], v[18:19]
	v_add_f64 v[84:85], v[84:85], v[86:87]
	v_add_f64 v[86:87], v[122:123], v[92:93]
	v_add_f64 v[4:5], v[104:105], v[4:5]
	v_add_f64 v[98:99], v[24:25], v[98:99]
	v_add_f64 v[106:107], v[118:119], v[148:149]
	v_add_f64 v[118:119], v[126:127], v[150:151]
	v_add_f64 v[80:81], v[90:91], v[80:81]
	v_add_f64 v[90:91], v[132:133], v[96:97]
	v_add_f64 v[82:83], v[100:101], v[82:83]
	v_add_f64 v[18:19], v[182:183], v[18:19]
	v_add_f64 v[96:97], v[20:21], v[98:99]
	v_add_f64 v[98:99], v[116:117], v[106:107]
	v_add_f64 v[100:101], v[124:125], v[118:119]
	v_add_f64 v[80:81], v[94:95], v[80:81]
	v_add_f64 v[90:91], v[134:135], v[90:91]
	v_mul_u32_u24_e32 v94, 0x88, v113
	v_add3_u32 v94, 0, v94, v200
	v_add_f64 v[92:93], v[0:1], v[96:97]
	ds_write2_b64 v94, v[8:9], v[10:11] offset0:12 offset1:13
	ds_write2_b64 v94, v[12:13], v[14:15] offset0:14 offset1:15
	;; [unrolled: 1-line block ×7, first 2 shown]
	ds_write2_b64 v94, v[92:93], v[4:5] offset1:1
	ds_write_b64 v94, v[16:17] offset:128
.LBB0_15:
	s_or_b32 exec_lo, exec_lo, s0
	v_lshlrev_b32_e32 v4, 3, v113
	s_waitcnt lgkmcnt(0)
	s_barrier
	buffer_gl0_inv
	v_cmp_gt_u32_e64 s0, 17, v113
	v_add_nc_u32_e32 v201, 0, v4
	v_add3_u32 v198, 0, v200, v4
	v_add_nc_u32_e32 v199, v201, v200
	v_add_nc_u32_e32 v5, 0x800, v199
	;; [unrolled: 1-line block ×5, first 2 shown]
	ds_read2_b64 v[80:83], v199 offset0:102 offset1:221
	ds_read2_b64 v[84:87], v5 offset0:67 offset1:186
	;; [unrolled: 1-line block ×5, first 2 shown]
	ds_read_b64 v[114:115], v198
	ds_read_b64 v[116:117], v199 offset:9656
	s_and_saveexec_b32 s4, s0
	s_cbranch_execz .LBB0_17
; %bb.16:
	v_add_nc_u32_e32 v5, 0x600, v199
	v_add_nc_u32_e32 v16, 0x2200, v199
	ds_read2_b64 v[12:15], v4 offset0:6 offset1:227
	ds_read2_b64 v[8:11], v5 offset0:12 offset1:233
	ds_read2_b64 v[16:19], v16 offset1:221
.LBB0_17:
	s_or_b32 exec_lo, exec_lo, s4
	v_add_f64 v[48:49], v[48:49], -v[0:1]
	s_mov_b32 s26, 0x5d8e7cdc
	s_mov_b32 s24, 0x2a9d6da3
	;; [unrolled: 1-line block ×8, first 2 shown]
	v_add_f64 v[4:5], v[2:3], v[50:51]
	v_add_f64 v[20:21], v[64:65], -v[20:21]
	s_mov_b32 s16, 0x370991
	s_mov_b32 s14, 0x75d4884
	;; [unrolled: 1-line block ×11, first 2 shown]
	v_mul_f64 v[132:133], v[48:49], s[26:27]
	v_mul_f64 v[128:129], v[48:49], s[24:25]
	;; [unrolled: 1-line block ×5, first 2 shown]
	s_mov_b32 s19, 0xbfd183b1
	s_mov_b32 s39, 0xbfe9895b
	;; [unrolled: 1-line block ×5, first 2 shown]
	v_add_f64 v[64:65], v[22:23], v[66:67]
	v_add_f64 v[24:25], v[68:69], -v[24:25]
	v_mul_f64 v[130:131], v[20:21], s[24:25]
	v_mul_f64 v[126:127], v[20:21], s[36:37]
	v_mul_f64 v[122:123], v[20:21], s[38:39]
	v_mul_f64 v[118:119], v[20:21], s[34:35]
	v_mul_f64 v[134:135], v[20:21], s[42:43]
	s_mov_b32 s28, 0x7faef3
	s_mov_b32 s30, 0x910ea3b9
	;; [unrolled: 1-line block ×5, first 2 shown]
	v_fma_f64 v[0:1], v[4:5], s[16:17], v[132:133]
	v_fma_f64 v[100:101], v[4:5], s[14:15], v[128:129]
	;; [unrolled: 1-line block ×5, first 2 shown]
	s_mov_b32 s47, 0x3feec746
	s_mov_b32 s41, 0x3fe58eea
	;; [unrolled: 1-line block ×5, first 2 shown]
	v_add_f64 v[68:69], v[26:27], v[70:71]
	v_add_f64 v[28:29], v[72:73], -v[28:29]
	v_mul_f64 v[140:141], v[24:25], s[8:9]
	v_mul_f64 v[138:139], v[24:25], s[38:39]
	v_fma_f64 v[148:149], v[64:65], s[14:15], v[130:131]
	v_fma_f64 v[160:161], v[64:65], s[6:7], v[126:127]
	;; [unrolled: 1-line block ×4, first 2 shown]
	v_mul_f64 v[146:147], v[24:25], s[44:45]
	v_mul_f64 v[144:145], v[24:25], s[46:47]
	;; [unrolled: 1-line block ×3, first 2 shown]
	v_fma_f64 v[166:167], v[64:65], s[30:31], v[134:135]
	v_add_f64 v[0:1], v[6:7], v[0:1]
	v_add_f64 v[100:101], v[6:7], v[100:101]
	;; [unrolled: 1-line block ×5, first 2 shown]
	s_mov_b32 s48, s26
	v_add_f64 v[72:73], v[30:31], v[74:75]
	v_add_f64 v[32:33], v[76:77], -v[32:33]
	v_add_f64 v[76:77], v[34:35], v[78:79]
	v_add_f64 v[60:61], v[60:61], -v[36:37]
	s_mov_b32 s45, 0x3fefdd0d
	v_mul_f64 v[158:159], v[28:29], s[36:37]
	v_mul_f64 v[156:157], v[28:29], s[34:35]
	;; [unrolled: 1-line block ×5, first 2 shown]
	v_fma_f64 v[170:171], v[68:69], s[4:5], v[140:141]
	s_mov_b32 s44, s36
	v_fma_f64 v[172:173], v[68:69], s[28:29], v[146:147]
	v_fma_f64 v[174:175], v[68:69], s[18:19], v[144:145]
	;; [unrolled: 1-line block ×3, first 2 shown]
	v_add_f64 v[44:45], v[56:57], -v[44:45]
	v_add_f64 v[0:1], v[148:149], v[0:1]
	v_add_f64 v[100:101], v[160:161], v[100:101]
	;; [unrolled: 1-line block ×4, first 2 shown]
	v_fma_f64 v[148:149], v[68:69], s[22:23], v[138:139]
	v_add_f64 v[106:107], v[166:167], v[106:107]
	s_mov_b32 s51, 0x3fe9895b
	v_mul_f64 v[168:169], v[32:33], s[20:21]
	v_mul_f64 v[166:167], v[32:33], s[42:43]
	;; [unrolled: 1-line block ×5, first 2 shown]
	v_fma_f64 v[36:37], v[72:73], s[6:7], v[158:159]
	v_fma_f64 v[182:183], v[72:73], s[28:29], v[156:157]
	;; [unrolled: 1-line block ×5, first 2 shown]
	s_mov_b32 s43, 0xbfe0d888
	v_mul_f64 v[180:181], v[60:61], s[38:39]
	v_mul_f64 v[178:179], v[60:61], s[42:43]
	s_mov_b32 s50, s38
	s_mov_b32 s9, 0x3feca52d
	v_add_f64 v[0:1], v[170:171], v[0:1]
	v_add_f64 v[56:57], v[46:47], v[58:59]
	;; [unrolled: 1-line block ×7, first 2 shown]
	v_mul_f64 v[176:177], v[60:61], s[46:47]
	v_mul_f64 v[174:175], v[60:61], s[26:27]
	;; [unrolled: 1-line block ×3, first 2 shown]
	v_fma_f64 v[170:171], v[76:77], s[18:19], v[168:169]
	v_fma_f64 v[192:193], v[76:77], s[30:31], v[166:167]
	;; [unrolled: 1-line block ×5, first 2 shown]
	v_mul_f64 v[190:191], v[44:45], s[36:37]
	v_mul_f64 v[196:197], v[44:45], s[42:43]
	;; [unrolled: 1-line block ×3, first 2 shown]
	s_waitcnt lgkmcnt(0)
	s_barrier
	buffer_gl0_inv
	v_add_f64 v[0:1], v[36:37], v[0:1]
	v_add_f64 v[36:37], v[52:53], -v[40:41]
	v_add_f64 v[102:103], v[184:185], v[102:103]
	v_add_f64 v[104:105], v[186:187], v[104:105]
	;; [unrolled: 1-line block ×4, first 2 shown]
	v_mul_f64 v[188:189], v[44:45], s[50:51]
	v_mul_f64 v[186:187], v[44:45], s[26:27]
	v_fma_f64 v[208:209], v[148:149], s[22:23], v[180:181]
	v_fma_f64 v[210:211], v[148:149], s[18:19], v[176:177]
	v_fma_f64 v[212:213], v[148:149], s[16:17], v[174:175]
	v_fma_f64 v[214:215], v[148:149], s[6:7], v[172:173]
	v_fma_f64 v[216:217], v[148:149], s[30:31], v[178:179]
	v_add_f64 v[40:41], v[42:43], v[54:55]
	v_fma_f64 v[218:219], v[56:57], s[30:31], v[196:197]
	v_fma_f64 v[220:221], v[56:57], s[4:5], v[194:195]
	v_add_f64 v[0:1], v[170:171], v[0:1]
	v_mul_f64 v[184:185], v[36:37], s[48:49]
	v_add_f64 v[102:103], v[202:203], v[102:103]
	v_add_f64 v[104:105], v[204:205], v[104:105]
	;; [unrolled: 1-line block ×4, first 2 shown]
	v_mul_f64 v[192:193], v[36:37], s[34:35]
	v_mul_f64 v[170:171], v[36:37], s[40:41]
	;; [unrolled: 1-line block ×4, first 2 shown]
	v_fma_f64 v[202:203], v[56:57], s[6:7], v[190:191]
	v_fma_f64 v[204:205], v[56:57], s[22:23], v[188:189]
	;; [unrolled: 1-line block ×3, first 2 shown]
	v_add_f64 v[0:1], v[208:209], v[0:1]
	v_add_f64 v[102:103], v[212:213], v[102:103]
	;; [unrolled: 1-line block ×5, first 2 shown]
	v_fma_f64 v[208:209], v[40:41], s[28:29], v[192:193]
	v_fma_f64 v[210:211], v[40:41], s[16:17], v[184:185]
	;; [unrolled: 1-line block ×5, first 2 shown]
	v_add_f64 v[0:1], v[218:219], v[0:1]
	v_add_f64 v[102:103], v[202:203], v[102:103]
	;; [unrolled: 1-line block ×10, first 2 shown]
	s_and_saveexec_b32 s33, s1
	s_cbranch_execz .LBB0_19
; %bb.18:
	v_add_f64 v[50:51], v[50:51], v[6:7]
	v_mul_f64 v[206:207], v[32:33], s[26:27]
	v_mul_f64 v[214:215], v[60:61], s[34:35]
	;; [unrolled: 1-line block ×3, first 2 shown]
	v_add_f64 v[50:51], v[66:67], v[50:51]
	v_fma_f64 v[210:211], v[76:77], s[16:17], -v[206:207]
	v_fma_f64 v[206:207], v[76:77], s[16:17], v[206:207]
	v_fma_f64 v[218:219], v[148:149], s[28:29], -v[214:215]
	v_fma_f64 v[214:215], v[148:149], s[28:29], v[214:215]
	v_fma_f64 v[226:227], v[56:57], s[14:15], -v[222:223]
	v_fma_f64 v[222:223], v[56:57], s[14:15], v[222:223]
	v_add_f64 v[50:51], v[70:71], v[50:51]
	v_mul_f64 v[70:71], v[64:65], s[28:29]
	v_add_f64 v[50:51], v[74:75], v[50:51]
	v_add_f64 v[70:71], v[70:71], -v[118:119]
	v_mul_f64 v[74:75], v[64:65], s[30:31]
	v_mul_f64 v[118:119], v[20:21], s[8:9]
	v_add_f64 v[50:51], v[78:79], v[50:51]
	v_mul_f64 v[78:79], v[20:21], s[46:47]
	v_mul_f64 v[20:21], v[20:21], s[48:49]
	v_add_f64 v[74:75], v[74:75], -v[134:135]
	v_mul_f64 v[134:135], v[24:25], s[26:27]
	v_add_f64 v[50:51], v[62:63], v[50:51]
	v_add_f64 v[50:51], v[58:59], v[50:51]
	;; [unrolled: 1-line block ×3, first 2 shown]
	v_mul_f64 v[54:55], v[48:49], s[42:43]
	v_add_f64 v[42:43], v[42:43], v[50:51]
	v_mul_f64 v[50:51], v[48:49], s[38:39]
	v_mul_f64 v[48:49], v[48:49], s[34:35]
	v_fma_f64 v[62:63], v[4:5], s[30:31], -v[54:55]
	v_fma_f64 v[54:55], v[4:5], s[30:31], v[54:55]
	v_add_f64 v[42:43], v[46:47], v[42:43]
	v_mul_f64 v[46:47], v[4:5], s[18:19]
	v_fma_f64 v[58:59], v[4:5], s[22:23], -v[50:51]
	v_fma_f64 v[50:51], v[4:5], s[22:23], v[50:51]
	v_fma_f64 v[66:67], v[4:5], s[28:29], -v[48:49]
	v_add_f64 v[54:55], v[6:7], v[54:55]
	v_add_f64 v[38:39], v[38:39], v[42:43]
	v_mul_f64 v[42:43], v[4:5], s[6:7]
	v_add_f64 v[46:47], v[46:47], -v[136:137]
	v_add_f64 v[50:51], v[6:7], v[50:51]
	v_mul_f64 v[136:137], v[24:25], s[36:37]
	v_mul_f64 v[24:25], v[24:25], s[42:43]
	v_add_f64 v[34:35], v[34:35], v[38:39]
	v_mul_f64 v[38:39], v[4:5], s[4:5]
	v_add_f64 v[42:43], v[42:43], -v[120:121]
	v_add_f64 v[46:47], v[6:7], v[46:47]
	v_fma_f64 v[120:121], v[64:65], s[18:19], -v[78:79]
	v_fma_f64 v[78:79], v[64:65], s[18:19], v[78:79]
	v_add_f64 v[30:31], v[30:31], v[34:35]
	v_mul_f64 v[34:35], v[4:5], s[14:15]
	v_add_f64 v[38:39], v[38:39], -v[124:125]
	v_add_f64 v[42:43], v[6:7], v[42:43]
	v_fma_f64 v[124:125], v[64:65], s[16:17], -v[20:21]
	v_fma_f64 v[20:21], v[64:65], s[16:17], v[20:21]
	v_add_f64 v[26:27], v[26:27], v[30:31]
	v_mul_f64 v[30:31], v[4:5], s[16:17]
	v_add_f64 v[34:35], v[34:35], -v[128:129]
	v_fma_f64 v[4:5], v[4:5], s[28:29], v[48:49]
	v_mul_f64 v[128:129], v[68:69], s[28:29]
	v_add_f64 v[38:39], v[6:7], v[38:39]
	v_add_f64 v[48:49], v[6:7], v[58:59]
	;; [unrolled: 1-line block ×4, first 2 shown]
	v_mul_f64 v[66:67], v[64:65], s[22:23]
	v_add_f64 v[30:31], v[30:31], -v[132:133]
	v_add_f64 v[34:35], v[6:7], v[34:35]
	v_add_f64 v[4:5], v[6:7], v[4:5]
	v_add_f64 v[128:129], v[128:129], -v[146:147]
	v_mul_f64 v[146:147], v[72:73], s[18:19]
	v_mul_f64 v[132:133], v[68:69], s[14:15]
	v_add_f64 v[66:67], v[66:67], -v[122:123]
	v_fma_f64 v[122:123], v[64:65], s[4:5], -v[118:119]
	v_fma_f64 v[118:119], v[64:65], s[4:5], v[118:119]
	v_add_f64 v[30:31], v[6:7], v[30:31]
	v_add_f64 v[6:7], v[22:23], v[26:27]
	v_mul_f64 v[22:23], v[64:65], s[14:15]
	v_mul_f64 v[26:27], v[64:65], s[6:7]
	v_add_f64 v[146:147], v[146:147], -v[154:155]
	v_mul_f64 v[154:155], v[72:73], s[16:17]
	v_mul_f64 v[64:65], v[68:69], s[4:5]
	v_add_f64 v[132:133], v[132:133], -v[142:143]
	v_fma_f64 v[142:143], v[68:69], s[30:31], -v[24:25]
	v_fma_f64 v[24:25], v[68:69], s[30:31], v[24:25]
	v_add_f64 v[4:5], v[20:21], v[4:5]
	v_add_f64 v[20:21], v[118:119], v[54:55]
	v_mul_f64 v[54:55], v[40:41], s[16:17]
	v_add_f64 v[2:3], v[2:3], v[6:7]
	v_add_f64 v[22:23], v[22:23], -v[130:131]
	v_mul_f64 v[130:131], v[68:69], s[18:19]
	v_add_f64 v[26:27], v[26:27], -v[126:127]
	v_mul_f64 v[126:127], v[68:69], s[22:23]
	;; [unrolled: 2-line block ×3, first 2 shown]
	v_add_f64 v[64:65], v[64:65], -v[140:141]
	v_fma_f64 v[140:141], v[68:69], s[6:7], -v[136:137]
	v_fma_f64 v[136:137], v[68:69], s[6:7], v[136:137]
	v_add_f64 v[4:5], v[24:25], v[4:5]
	v_mul_f64 v[24:25], v[40:41], s[30:31]
	v_add_f64 v[54:55], v[54:55], -v[184:185]
	v_lshlrev_b32_e32 v6, 7, v113
	v_add3_u32 v6, v201, v6, v200
	v_add_f64 v[22:23], v[22:23], v[30:31]
	v_add_f64 v[130:131], v[130:131], -v[144:145]
	v_mul_f64 v[144:145], v[72:73], s[28:29]
	v_add_f64 v[126:127], v[126:127], -v[138:139]
	v_fma_f64 v[138:139], v[68:69], s[16:17], -v[134:135]
	v_fma_f64 v[134:135], v[68:69], s[16:17], v[134:135]
	v_mul_f64 v[68:69], v[72:73], s[6:7]
	v_add_f64 v[150:151], v[154:155], -v[150:151]
	v_mul_f64 v[154:155], v[28:29], s[42:43]
	v_add_f64 v[26:27], v[26:27], v[34:35]
	v_add_f64 v[30:31], v[66:67], v[38:39]
	;; [unrolled: 1-line block ×9, first 2 shown]
	v_mul_f64 v[58:59], v[36:37], s[20:21]
	v_add_f64 v[24:25], v[24:25], -v[182:183]
	v_add_f64 v[22:23], v[64:65], v[22:23]
	v_add_f64 v[144:145], v[144:145], -v[156:157]
	v_mul_f64 v[156:157], v[28:29], s[50:51]
	v_mul_f64 v[28:29], v[28:29], s[40:41]
	v_add_f64 v[68:69], v[68:69], -v[158:159]
	v_fma_f64 v[158:159], v[72:73], s[30:31], -v[154:155]
	v_fma_f64 v[154:155], v[72:73], s[30:31], v[154:155]
	v_add_f64 v[26:27], v[126:127], v[26:27]
	v_add_f64 v[30:31], v[128:129], v[30:31]
	;; [unrolled: 1-line block ×8, first 2 shown]
	v_fma_f64 v[62:63], v[40:41], s[18:19], -v[58:59]
	v_fma_f64 v[58:59], v[40:41], s[18:19], v[58:59]
	v_fma_f64 v[202:203], v[72:73], s[22:23], -v[156:157]
	v_fma_f64 v[156:157], v[72:73], s[22:23], v[156:157]
	;; [unrolled: 2-line block ×3, first 2 shown]
	v_mul_f64 v[72:73], v[76:77], s[18:19]
	v_add_f64 v[22:23], v[68:69], v[22:23]
	v_add_f64 v[26:27], v[144:145], v[26:27]
	;; [unrolled: 1-line block ×11, first 2 shown]
	v_add_f64 v[72:73], v[72:73], -v[168:169]
	v_mul_f64 v[168:169], v[76:77], s[30:31]
	v_mul_f64 v[28:29], v[40:41], s[14:15]
	v_add_f64 v[48:49], v[210:211], v[48:49]
	v_add_f64 v[20:21], v[206:207], v[20:21]
	;; [unrolled: 1-line block ×3, first 2 shown]
	v_add_f64 v[166:167], v[168:169], -v[166:167]
	v_mul_f64 v[168:169], v[76:77], s[14:15]
	v_add_f64 v[28:29], v[28:29], -v[170:171]
	v_add_f64 v[48:49], v[218:219], v[48:49]
	v_add_f64 v[20:21], v[214:215], v[20:21]
	;; [unrolled: 1-line block ×3, first 2 shown]
	v_add_f64 v[164:165], v[168:169], -v[164:165]
	v_mul_f64 v[168:169], v[76:77], s[4:5]
	v_add_f64 v[20:21], v[222:223], v[20:21]
	v_add_f64 v[30:31], v[164:165], v[30:31]
	v_add_f64 v[162:163], v[168:169], -v[162:163]
	v_mul_f64 v[168:169], v[76:77], s[28:29]
	v_add_f64 v[20:21], v[58:59], v[20:21]
	v_add_f64 v[34:35], v[162:163], v[34:35]
	v_add_f64 v[160:161], v[168:169], -v[160:161]
	v_mul_f64 v[168:169], v[32:33], s[44:45]
	v_mul_f64 v[32:33], v[32:33], s[38:39]
	v_add_f64 v[38:39], v[160:161], v[38:39]
	v_fma_f64 v[208:209], v[76:77], s[6:7], -v[168:169]
	v_fma_f64 v[168:169], v[76:77], s[6:7], v[168:169]
	v_fma_f64 v[212:213], v[76:77], s[22:23], -v[32:33]
	v_fma_f64 v[32:33], v[76:77], s[22:23], v[32:33]
	v_mul_f64 v[76:77], v[148:149], s[22:23]
	v_add_f64 v[42:43], v[208:209], v[42:43]
	v_add_f64 v[46:47], v[168:169], v[46:47]
	;; [unrolled: 1-line block ×4, first 2 shown]
	v_add_f64 v[76:77], v[76:77], -v[180:181]
	v_mul_f64 v[180:181], v[148:149], s[18:19]
	v_mul_f64 v[32:33], v[40:41], s[22:23]
	v_add_f64 v[22:23], v[76:77], v[22:23]
	v_add_f64 v[176:177], v[180:181], -v[176:177]
	v_mul_f64 v[180:181], v[148:149], s[16:17]
	v_add_f64 v[32:33], v[32:33], -v[52:53]
	v_mul_f64 v[52:53], v[36:37], s[8:9]
	v_mul_f64 v[36:37], v[36:37], s[44:45]
	v_add_f64 v[26:27], v[176:177], v[26:27]
	v_add_f64 v[174:175], v[180:181], -v[174:175]
	v_mul_f64 v[180:181], v[148:149], s[30:31]
	v_fma_f64 v[64:65], v[40:41], s[6:7], -v[36:37]
	v_fma_f64 v[36:37], v[40:41], s[6:7], v[36:37]
	v_add_f64 v[30:31], v[174:175], v[30:31]
	v_add_f64 v[178:179], v[180:181], -v[178:179]
	v_mul_f64 v[180:181], v[148:149], s[6:7]
	v_add_f64 v[34:35], v[178:179], v[34:35]
	v_add_f64 v[172:173], v[180:181], -v[172:173]
	v_mul_f64 v[180:181], v[60:61], s[24:25]
	v_mul_f64 v[60:61], v[60:61], s[8:9]
	v_add_f64 v[38:39], v[172:173], v[38:39]
	v_fma_f64 v[216:217], v[148:149], s[14:15], -v[180:181]
	v_fma_f64 v[180:181], v[148:149], s[14:15], v[180:181]
	v_fma_f64 v[220:221], v[148:149], s[4:5], -v[60:61]
	v_fma_f64 v[60:61], v[148:149], s[4:5], v[60:61]
	v_mul_f64 v[148:149], v[56:57], s[30:31]
	v_add_f64 v[42:43], v[216:217], v[42:43]
	v_add_f64 v[46:47], v[180:181], v[46:47]
	;; [unrolled: 1-line block ×4, first 2 shown]
	v_add_f64 v[148:149], v[148:149], -v[196:197]
	v_mul_f64 v[196:197], v[56:57], s[4:5]
	v_fma_f64 v[60:61], v[40:41], s[4:5], -v[52:53]
	v_fma_f64 v[52:53], v[40:41], s[4:5], v[52:53]
	v_add_f64 v[22:23], v[148:149], v[22:23]
	v_add_f64 v[194:195], v[196:197], -v[194:195]
	v_mul_f64 v[196:197], v[56:57], s[6:7]
	v_add_f64 v[26:27], v[194:195], v[26:27]
	v_add_f64 v[190:191], v[196:197], -v[190:191]
	v_mul_f64 v[196:197], v[56:57], s[22:23]
	v_add_f64 v[26:27], v[54:55], v[26:27]
	v_add_f64 v[30:31], v[190:191], v[30:31]
	v_add_f64 v[188:189], v[196:197], -v[188:189]
	v_mul_f64 v[196:197], v[56:57], s[16:17]
	v_add_f64 v[24:25], v[24:25], v[30:31]
	v_add_f64 v[34:35], v[188:189], v[34:35]
	v_add_f64 v[186:187], v[196:197], -v[186:187]
	v_mul_f64 v[196:197], v[44:45], s[34:35]
	v_mul_f64 v[44:45], v[44:45], s[20:21]
	v_add_f64 v[28:29], v[28:29], v[34:35]
	v_add_f64 v[38:39], v[186:187], v[38:39]
	v_fma_f64 v[224:225], v[56:57], s[28:29], -v[196:197]
	v_fma_f64 v[196:197], v[56:57], s[28:29], v[196:197]
	v_fma_f64 v[228:229], v[56:57], s[18:19], -v[44:45]
	v_fma_f64 v[44:45], v[56:57], s[18:19], v[44:45]
	v_mul_f64 v[56:57], v[40:41], s[28:29]
	v_add_f64 v[30:31], v[32:33], v[38:39]
	v_add_f64 v[40:41], v[224:225], v[42:43]
	;; [unrolled: 1-line block ×6, first 2 shown]
	v_add_f64 v[56:57], v[56:57], -v[192:193]
	v_add_f64 v[32:33], v[60:61], v[40:41]
	v_add_f64 v[34:35], v[52:53], v[42:43]
	;; [unrolled: 1-line block ×6, first 2 shown]
	ds_write2_b64 v6, v[100:101], v[102:103] offset0:12 offset1:13
	ds_write2_b64 v6, v[104:105], v[106:107] offset0:14 offset1:15
	;; [unrolled: 1-line block ×7, first 2 shown]
	ds_write2_b64 v6, v[2:3], v[22:23] offset1:1
	ds_write_b64 v6, v[0:1] offset:128
.LBB0_19:
	s_or_b32 exec_lo, exec_lo, s33
	v_add_nc_u32_e32 v3, 0x800, v199
	v_add_nc_u32_e32 v20, 0x1000, v199
	;; [unrolled: 1-line block ×4, first 2 shown]
	s_waitcnt lgkmcnt(0)
	s_barrier
	buffer_gl0_inv
	ds_read2_b64 v[4:7], v199 offset0:102 offset1:221
	ds_read2_b64 v[28:31], v3 offset0:67 offset1:186
	;; [unrolled: 1-line block ×5, first 2 shown]
	ds_read_b64 v[36:37], v198
	ds_read_b64 v[40:41], v199 offset:9656
	s_and_saveexec_b32 s1, s0
	s_cbranch_execz .LBB0_21
; %bb.20:
	v_add_nc_u32_e32 v0, 0x600, v199
	v_add_nc_u32_e32 v1, 0x2200, v199
	ds_read2_b64 v[104:107], v2 offset0:6 offset1:227
	ds_read2_b64 v[100:103], v0 offset0:12 offset1:233
	ds_read2_b64 v[0:3], v1 offset1:221
.LBB0_21:
	s_or_b32 exec_lo, exec_lo, s1
	v_add_nc_u16 v38, v113, 0x66
	v_and_b32_e32 v39, 0xff, v113
	v_mov_b32_e32 v78, 5
	v_add_nc_u32_e32 v74, 0xcc, v113
	v_mov_b32_e32 v66, 0xf0f1
	v_and_b32_e32 v42, 0xff, v38
	v_mul_lo_u16 v39, 0xf1, v39
	s_mov_b32 s4, 0xe8584caa
	s_mov_b32 s5, 0xbfebb67a
	v_mul_u32_u24_sdwa v66, v74, v66 dst_sel:DWORD dst_unused:UNUSED_PAD src0_sel:WORD_0 src1_sel:DWORD
	v_mul_lo_u16 v42, 0xf1, v42
	v_lshrrev_b16 v153, 12, v39
	s_mov_b32 s7, 0x3febb67a
	s_mov_b32 s6, s4
	v_lshrrev_b32_e32 v66, 20, v66
	v_lshrrev_b16 v154, 12, v42
	v_mul_lo_u16 v39, v153, 17
	v_mul_lo_u16 v75, v66, 17
	;; [unrolled: 1-line block ×3, first 2 shown]
	v_sub_nc_u16 v155, v113, v39
	v_sub_nc_u16 v118, v74, v75
	;; [unrolled: 1-line block ×3, first 2 shown]
	v_mul_u32_u24_sdwa v38, v155, v78 dst_sel:DWORD dst_unused:UNUSED_PAD src0_sel:BYTE_0 src1_sel:DWORD
	v_mul_u32_u24_sdwa v39, v156, v78 dst_sel:DWORD dst_unused:UNUSED_PAD src0_sel:BYTE_0 src1_sel:DWORD
	v_lshlrev_b32_e32 v38, 4, v38
	v_lshlrev_b32_e32 v39, 4, v39
	s_clause 0x9
	global_load_dwordx4 v[42:45], v38, s[12:13] offset:32
	global_load_dwordx4 v[46:49], v38, s[12:13] offset:64
	;; [unrolled: 1-line block ×4, first 2 shown]
	global_load_dwordx4 v[58:61], v38, s[12:13]
	global_load_dwordx4 v[62:65], v39, s[12:13]
	global_load_dwordx4 v[66:69], v38, s[12:13] offset:16
	global_load_dwordx4 v[70:73], v38, s[12:13] offset:48
	;; [unrolled: 1-line block ×4, first 2 shown]
	v_mul_u32_u24_sdwa v38, v118, v78 dst_sel:DWORD dst_unused:UNUSED_PAD src0_sel:WORD_0 src1_sel:DWORD
	v_lshlrev_b32_e32 v38, 4, v38
	s_clause 0x4
	global_load_dwordx4 v[123:126], v38, s[12:13] offset:32
	global_load_dwordx4 v[127:130], v38, s[12:13] offset:64
	global_load_dwordx4 v[131:134], v38, s[12:13]
	global_load_dwordx4 v[135:138], v38, s[12:13] offset:16
	global_load_dwordx4 v[139:142], v38, s[12:13] offset:48
	s_waitcnt vmcnt(0) lgkmcnt(0)
	s_barrier
	buffer_gl0_inv
	v_mul_f64 v[38:39], v[90:91], v[44:45]
	v_mul_f64 v[78:79], v[94:95], v[48:49]
	;; [unrolled: 1-line block ×14, first 2 shown]
	v_fma_f64 v[38:39], v[22:23], v[42:43], -v[38:39]
	v_fma_f64 v[22:23], v[26:27], v[46:47], -v[78:79]
	;; [unrolled: 1-line block ×4, first 2 shown]
	v_mul_f64 v[78:79], v[30:31], v[68:69]
	v_mul_f64 v[143:144], v[34:35], v[72:73]
	v_fma_f64 v[90:91], v[90:91], v[42:43], v[44:45]
	v_fma_f64 v[46:47], v[94:95], v[46:47], v[48:49]
	v_fma_f64 v[6:7], v[6:7], v[58:59], -v[147:148]
	v_mul_f64 v[145:146], v[20:21], v[76:77]
	v_fma_f64 v[94:95], v[96:97], v[50:51], v[52:53]
	v_fma_f64 v[56:57], v[116:117], v[54:55], v[56:57]
	v_fma_f64 v[40:41], v[28:29], v[62:63], -v[149:150]
	v_mul_f64 v[50:51], v[86:87], v[68:69]
	v_mul_f64 v[68:69], v[98:99], v[72:73]
	;; [unrolled: 1-line block ×6, first 2 shown]
	v_fma_f64 v[58:59], v[82:83], v[58:59], v[60:61]
	v_mul_f64 v[76:77], v[88:89], v[76:77]
	v_fma_f64 v[44:45], v[92:93], v[119:120], v[151:152]
	v_fma_f64 v[62:63], v[84:85], v[62:63], v[64:65]
	v_add_f64 v[48:49], v[38:39], v[22:23]
	v_mul_f64 v[92:93], v[102:103], v[133:134]
	v_add_f64 v[28:29], v[32:33], v[26:27]
	v_fma_f64 v[52:53], v[86:87], v[66:67], v[78:79]
	v_fma_f64 v[54:55], v[98:99], v[70:71], v[143:144]
	v_mul_f64 v[98:99], v[10:11], v[133:134]
	v_add_f64 v[60:61], v[90:91], v[46:47]
	v_add_f64 v[86:87], v[90:91], -v[46:47]
	v_fma_f64 v[42:43], v[88:89], v[74:75], v[145:146]
	v_and_b32_e32 v133, 0xffff, v153
	v_add_f64 v[64:65], v[94:95], v[56:57]
	v_add_f64 v[84:85], v[94:95], -v[56:57]
	v_fma_f64 v[66:67], v[30:31], v[66:67], -v[50:51]
	v_fma_f64 v[50:51], v[34:35], v[70:71], -v[68:69]
	v_fma_f64 v[82:83], v[14:15], v[123:124], v[72:73]
	v_fma_f64 v[30:31], v[106:107], v[123:124], -v[96:97]
	v_fma_f64 v[78:79], v[18:19], v[127:128], v[116:117]
	v_add_f64 v[72:73], v[38:39], -v[22:23]
	v_add_f64 v[96:97], v[32:33], -v[26:27]
	v_fma_f64 v[20:21], v[20:21], v[74:75], -v[76:77]
	v_mul_f64 v[106:107], v[12:13], v[137:138]
	v_mul_f64 v[116:117], v[16:17], v[141:142]
	v_fma_f64 v[48:49], v[48:49], -0.5, v[6:7]
	v_fma_f64 v[88:89], v[28:29], -0.5, v[40:41]
	v_fma_f64 v[28:29], v[2:3], v[127:128], -v[125:126]
	v_add_f64 v[34:35], v[52:53], v[54:55]
	v_fma_f64 v[2:3], v[24:25], v[119:120], -v[121:122]
	v_fma_f64 v[60:61], v[60:61], -0.5, v[58:59]
	v_fma_f64 v[24:25], v[102:103], v[131:132], -v[98:99]
	v_add_f64 v[74:75], v[42:43], v[44:45]
	v_add_f64 v[58:59], v[58:59], v[90:91]
	v_mul_f64 v[102:103], v[104:105], v[137:138]
	v_add_f64 v[121:122], v[82:83], -v[78:79]
	v_fma_f64 v[70:71], v[86:87], s[6:7], v[48:49]
	v_fma_f64 v[68:69], v[86:87], s[4:5], v[48:49]
	v_fma_f64 v[48:49], v[64:65], -0.5, v[62:63]
	v_fma_f64 v[18:19], v[84:85], s[6:7], v[88:89]
	v_fma_f64 v[14:15], v[84:85], s[4:5], v[88:89]
	;; [unrolled: 1-line block ×3, first 2 shown]
	v_add_f64 v[64:65], v[114:115], v[52:53]
	v_add_f64 v[86:87], v[66:67], -v[50:51]
	v_add_f64 v[88:89], v[82:83], v[78:79]
	v_add_f64 v[90:91], v[30:31], v[28:29]
	;; [unrolled: 1-line block ×4, first 2 shown]
	v_fma_f64 v[34:35], v[34:35], -0.5, v[114:115]
	v_fma_f64 v[76:77], v[72:73], s[4:5], v[60:61]
	v_fma_f64 v[10:11], v[72:73], s[6:7], v[60:61]
	v_add_f64 v[98:99], v[20:21], -v[2:3]
	v_fma_f64 v[80:81], v[74:75], -0.5, v[80:81]
	v_mul_f64 v[114:115], v[0:1], v[141:142]
	v_add_f64 v[119:120], v[30:31], -v[28:29]
	v_add_f64 v[46:47], v[58:59], v[46:47]
	v_fma_f64 v[58:59], v[12:13], v[135:136], v[102:103]
	v_mul_f64 v[60:61], v[70:71], s[4:5]
	v_mul_f64 v[94:95], v[68:69], s[4:5]
	v_fma_f64 v[72:73], v[96:97], s[4:5], v[48:49]
	v_fma_f64 v[74:75], v[96:97], s[6:7], v[48:49]
	v_mul_f64 v[48:49], v[18:19], s[4:5]
	v_mul_f64 v[96:97], v[14:15], s[4:5]
	v_add_f64 v[123:124], v[64:65], v[54:55]
	v_fma_f64 v[64:65], v[104:105], v[135:136], -v[106:107]
	v_fma_f64 v[88:89], v[88:89], -0.5, v[84:85]
	v_fma_f64 v[90:91], v[90:91], -0.5, v[24:25]
	v_add_f64 v[92:93], v[92:93], v[44:45]
	v_add_f64 v[62:63], v[62:63], v[56:57]
	v_fma_f64 v[125:126], v[86:87], s[4:5], v[34:35]
	v_fma_f64 v[127:128], v[86:87], s[6:7], v[34:35]
	v_fma_f64 v[34:35], v[0:1], v[139:140], -v[116:117]
	v_mov_b32_e32 v86, 3
	v_fma_f64 v[131:132], v[98:99], s[4:5], v[80:81]
	v_fma_f64 v[80:81], v[98:99], s[6:7], v[80:81]
	v_fma_f64 v[129:130], v[76:77], 0.5, v[60:61]
	v_fma_f64 v[94:95], v[10:11], -0.5, v[94:95]
	v_fma_f64 v[60:61], v[16:17], v[139:140], v[114:115]
	v_fma_f64 v[98:99], v[72:73], 0.5, v[48:49]
	v_fma_f64 v[96:97], v[74:75], -0.5, v[96:97]
	v_add_f64 v[0:1], v[123:124], v[46:47]
	v_add_f64 v[12:13], v[123:124], -v[46:47]
	v_fma_f64 v[46:47], v[119:120], s[4:5], v[88:89]
	v_fma_f64 v[48:49], v[119:120], s[6:7], v[88:89]
	;; [unrolled: 1-line block ×3, first 2 shown]
	v_add_f64 v[16:17], v[92:93], v[62:63]
	v_add_f64 v[87:88], v[92:93], -v[62:63]
	v_fma_f64 v[62:63], v[121:122], s[4:5], v[90:91]
	v_lshlrev_b32_sdwa v89, v86, v155 dst_sel:DWORD dst_unused:UNUSED_PAD src0_sel:DWORD src1_sel:BYTE_0
	v_lshlrev_b32_sdwa v90, v86, v156 dst_sel:DWORD dst_unused:UNUSED_PAD src0_sel:DWORD src1_sel:BYTE_0
	v_add_f64 v[92:93], v[125:126], v[129:130]
	v_add_f64 v[102:103], v[127:128], v[94:95]
	v_add_f64 v[104:105], v[125:126], -v[129:130]
	v_add_f64 v[94:95], v[127:128], -v[94:95]
	v_add_f64 v[106:107], v[131:132], v[98:99]
	v_add_f64 v[114:115], v[80:81], v[96:97]
	v_add_f64 v[98:99], v[131:132], -v[98:99]
	v_add_f64 v[96:97], v[80:81], -v[96:97]
	v_and_b32_e32 v80, 0xffff, v154
	v_mad_u32_u24 v81, 0x330, v133, 0
	v_mad_u32_u24 v80, 0x330, v80, 0
	v_add3_u32 v81, v81, v89, v200
	v_add3_u32 v80, v80, v90, v200
	ds_write2_b64 v81, v[0:1], v[92:93] offset1:17
	ds_write2_b64 v81, v[102:103], v[12:13] offset0:34 offset1:51
	ds_write2_b64 v81, v[104:105], v[94:95] offset0:68 offset1:85
	ds_write2_b64 v80, v[16:17], v[106:107] offset1:17
	ds_write2_b64 v80, v[114:115], v[87:88] offset0:34 offset1:51
	ds_write2_b64 v80, v[98:99], v[96:97] offset0:68 offset1:85
	s_and_saveexec_b32 s1, s0
	s_cbranch_execz .LBB0_23
; %bb.22:
	v_add_f64 v[0:1], v[58:59], v[60:61]
	v_add_f64 v[12:13], v[64:65], -v[34:35]
	v_mul_f64 v[16:17], v[62:63], s[4:5]
	v_add_f64 v[87:88], v[8:9], v[58:59]
	v_add_f64 v[82:83], v[84:85], v[82:83]
	v_mul_f64 v[84:85], v[56:57], s[4:5]
	v_fma_f64 v[0:1], v[0:1], -0.5, v[8:9]
	v_fma_f64 v[8:9], v[48:49], -0.5, v[16:17]
	v_add_f64 v[16:17], v[87:88], v[60:61]
	v_add_f64 v[78:79], v[82:83], v[78:79]
	v_fma_f64 v[82:83], v[46:47], 0.5, v[84:85]
	v_fma_f64 v[84:85], v[12:13], s[6:7], v[0:1]
	v_fma_f64 v[0:1], v[12:13], s[4:5], v[0:1]
	v_add_f64 v[12:13], v[16:17], -v[78:79]
	v_add_f64 v[16:17], v[16:17], v[78:79]
	v_add_f64 v[78:79], v[84:85], -v[8:9]
	v_add_f64 v[87:88], v[0:1], v[82:83]
	v_add_f64 v[8:9], v[84:85], v[8:9]
	v_add_f64 v[0:1], v[0:1], -v[82:83]
	v_lshlrev_b32_sdwa v82, v86, v118 dst_sel:DWORD dst_unused:UNUSED_PAD src0_sel:DWORD src1_sel:WORD_0
	v_add3_u32 v82, 0, v82, v200
	v_add_nc_u32_e32 v83, 0x2000, v82
	v_add_nc_u32_e32 v82, 0x2800, v82
	ds_write2_b64 v83, v[16:17], v[87:88] offset0:200 offset1:217
	ds_write2_b64 v83, v[8:9], v[12:13] offset0:234 offset1:251
	;; [unrolled: 1-line block ×3, first 2 shown]
.LBB0_23:
	s_or_b32 exec_lo, exec_lo, s1
	v_add_f64 v[0:1], v[66:67], v[50:51]
	v_add_f64 v[8:9], v[20:21], v[2:3]
	;; [unrolled: 1-line block ×3, first 2 shown]
	v_add_f64 v[16:17], v[52:53], -v[54:55]
	v_add_f64 v[6:7], v[6:7], v[38:39]
	v_mul_f64 v[38:39], v[70:71], 0.5
	v_add_f64 v[20:21], v[4:5], v[20:21]
	v_add_f64 v[32:33], v[40:41], v[32:33]
	v_mul_f64 v[40:41], v[68:69], -0.5
	v_mul_f64 v[18:19], v[18:19], 0.5
	v_mul_f64 v[14:15], v[14:15], -0.5
	v_add_nc_u32_e32 v78, 0x2000, v199
	s_waitcnt lgkmcnt(0)
	s_barrier
	buffer_gl0_inv
	v_fma_f64 v[0:1], v[0:1], -0.5, v[36:37]
	v_add_f64 v[36:37], v[42:43], -v[44:45]
	v_fma_f64 v[4:5], v[8:9], -0.5, v[4:5]
	v_add_f64 v[8:9], v[12:13], v[50:51]
	v_add_f64 v[22:23], v[6:7], v[22:23]
	v_fma_f64 v[38:39], v[76:77], s[6:7], v[38:39]
	v_add_f64 v[2:3], v[20:21], v[2:3]
	v_add_f64 v[20:21], v[32:33], v[26:27]
	v_fma_f64 v[10:11], v[10:11], s[6:7], v[40:41]
	v_fma_f64 v[40:41], v[72:73], s[6:7], v[18:19]
	;; [unrolled: 1-line block ×3, first 2 shown]
	v_add_nc_u32_e32 v12, 0x800, v199
	v_add_nc_u32_e32 v76, 0x1400, v199
	;; [unrolled: 1-line block ×3, first 2 shown]
	v_fma_f64 v[26:27], v[16:17], s[6:7], v[0:1]
	v_fma_f64 v[0:1], v[16:17], s[4:5], v[0:1]
	;; [unrolled: 1-line block ×4, first 2 shown]
	v_add_nc_u32_e32 v16, 0xc00, v199
	v_add_f64 v[50:51], v[8:9], v[22:23]
	ds_read_b64 v[32:33], v198
	ds_read2_b64 v[4:7], v199 offset0:102 offset1:204
	ds_read2_b64 v[12:15], v12 offset0:50 offset1:152
	;; [unrolled: 1-line block ×3, first 2 shown]
	v_add_f64 v[52:53], v[8:9], -v[22:23]
	v_add_f64 v[54:55], v[2:3], v[20:21]
	v_add_f64 v[66:67], v[2:3], -v[20:21]
	v_add_f64 v[68:69], v[26:27], v[38:39]
	v_add_f64 v[70:71], v[0:1], v[10:11]
	v_add_f64 v[26:27], v[26:27], -v[38:39]
	v_add_f64 v[38:39], v[0:1], -v[10:11]
	ds_read2_b64 v[20:23], v76 offset0:74 offset1:176
	ds_read2_b64 v[8:11], v77 offset0:150 offset1:252
	;; [unrolled: 1-line block ×3, first 2 shown]
	v_add_f64 v[72:73], v[44:45], v[40:41]
	v_add_f64 v[74:75], v[36:37], v[42:43]
	v_add_f64 v[40:41], v[44:45], -v[40:41]
	v_add_f64 v[36:37], v[36:37], -v[42:43]
	s_waitcnt lgkmcnt(0)
	s_barrier
	buffer_gl0_inv
	ds_write2_b64 v81, v[50:51], v[68:69] offset1:17
	ds_write2_b64 v81, v[70:71], v[52:53] offset0:34 offset1:51
	ds_write2_b64 v81, v[26:27], v[38:39] offset0:68 offset1:85
	ds_write2_b64 v80, v[54:55], v[72:73] offset1:17
	ds_write2_b64 v80, v[74:75], v[66:67] offset0:34 offset1:51
	ds_write2_b64 v80, v[40:41], v[36:37] offset0:68 offset1:85
	s_and_saveexec_b32 s1, s0
	s_cbranch_execz .LBB0_25
; %bb.24:
	v_add_f64 v[26:27], v[64:65], v[34:35]
	v_add_f64 v[36:37], v[100:101], v[64:65]
	v_add_f64 v[38:39], v[58:59], -v[60:61]
	v_add_f64 v[24:25], v[24:25], v[30:31]
	v_mul_f64 v[30:31], v[56:57], 0.5
	v_mul_f64 v[40:41], v[62:63], -0.5
	s_mov_b32 s4, 0xe8584caa
	s_mov_b32 s5, 0x3febb67a
	;; [unrolled: 1-line block ×4, first 2 shown]
	v_fma_f64 v[26:27], v[26:27], -0.5, v[100:101]
	v_add_f64 v[34:35], v[36:37], v[34:35]
	v_add_f64 v[24:25], v[24:25], v[28:29]
	v_fma_f64 v[28:29], v[46:47], s[4:5], v[30:31]
	v_fma_f64 v[30:31], v[48:49], s[4:5], v[40:41]
	;; [unrolled: 1-line block ×4, first 2 shown]
	v_add_f64 v[38:39], v[34:35], v[24:25]
	v_add_f64 v[24:25], v[34:35], -v[24:25]
	v_add_f64 v[34:35], v[36:37], v[28:29]
	v_add_f64 v[40:41], v[26:27], v[30:31]
	v_add_f64 v[28:29], v[36:37], -v[28:29]
	v_add_f64 v[26:27], v[26:27], -v[30:31]
	v_mov_b32_e32 v30, 3
	v_lshlrev_b32_sdwa v30, v30, v118 dst_sel:DWORD dst_unused:UNUSED_PAD src0_sel:DWORD src1_sel:WORD_0
	v_add3_u32 v30, 0, v30, v200
	v_add_nc_u32_e32 v31, 0x2000, v30
	v_add_nc_u32_e32 v30, 0x2800, v30
	ds_write2_b64 v31, v[38:39], v[34:35] offset0:200 offset1:217
	ds_write2_b64 v31, v[40:41], v[24:25] offset0:234 offset1:251
	;; [unrolled: 1-line block ×3, first 2 shown]
.LBB0_25:
	s_or_b32 exec_lo, exec_lo, s1
	s_waitcnt lgkmcnt(0)
	s_barrier
	buffer_gl0_inv
	s_and_saveexec_b32 s0, vcc_lo
	s_cbranch_execz .LBB0_27
; %bb.26:
	v_mul_u32_u24_e32 v24, 12, v113
	v_add_nc_u32_e32 v42, 0xc00, v199
	v_add_nc_u32_e32 v53, 0x1400, v199
	s_mov_b32 s16, 0x42a4c3d2
	s_mov_b32 s17, 0x3fea55e2
	v_lshlrev_b32_e32 v50, 4, v24
	s_mov_b32 s9, 0xbfea55e2
	s_mov_b32 s8, s16
	;; [unrolled: 1-line block ×4, first 2 shown]
	s_clause 0x3
	global_load_dwordx4 v[24:27], v50, s[12:13] offset:1440
	global_load_dwordx4 v[28:31], v50, s[12:13] offset:1424
	;; [unrolled: 1-line block ×4, first 2 shown]
	ds_read2_b64 v[42:45], v42 offset0:126 offset1:228
	s_mov_b32 s4, 0x2ef20147
	s_mov_b32 s5, 0xbfedeba7
	;; [unrolled: 1-line block ×20, first 2 shown]
	v_mul_lo_u32 v88, s3, v110
	v_mul_lo_u32 v89, s2, v111
	s_mov_b32 s3, 0xbfefc445
	v_mov_b32_e32 v113, 0
	s_waitcnt vmcnt(3)
	v_mul_f64 v[46:47], v[18:19], v[24:25]
	v_mul_f64 v[18:19], v[18:19], v[26:27]
	s_waitcnt vmcnt(2)
	v_mul_f64 v[48:49], v[16:17], v[28:29]
	v_mul_f64 v[51:52], v[16:17], v[30:31]
	;; [unrolled: 3-line block ×3, first 2 shown]
	s_waitcnt lgkmcnt(0)
	v_fma_f64 v[16:17], v[44:45], v[26:27], v[46:47]
	v_fma_f64 v[18:19], v[44:45], v[24:25], -v[18:19]
	v_fma_f64 v[26:27], v[42:43], v[30:31], v[48:49]
	v_fma_f64 v[30:31], v[42:43], v[28:29], -v[51:52]
	ds_read2_b64 v[42:45], v53 offset0:74 offset1:176
	s_clause 0x1
	global_load_dwordx4 v[46:49], v50, s[12:13] offset:1408
	global_load_dwordx4 v[51:54], v50, s[12:13] offset:1392
	v_mul_f64 v[24:25], v[20:21], v[34:35]
	v_mul_f64 v[28:29], v[20:21], v[36:37]
	s_waitcnt lgkmcnt(0)
	v_fma_f64 v[20:21], v[42:43], v[36:37], v[24:25]
	v_fma_f64 v[22:23], v[42:43], v[34:35], -v[28:29]
	v_add_nc_u32_e32 v42, 0x800, v199
	v_fma_f64 v[24:25], v[44:45], v[40:41], v[55:56]
	v_fma_f64 v[28:29], v[44:45], v[38:39], -v[57:58]
	v_add_f64 v[144:145], v[16:17], -v[20:21]
	v_add_f64 v[146:147], v[18:19], v[22:23]
	v_add_f64 v[150:151], v[18:19], -v[22:23]
	v_add_f64 v[132:133], v[26:27], -v[24:25]
	v_add_f64 v[134:135], v[30:31], v[28:29]
	v_add_f64 v[138:139], v[30:31], -v[28:29]
	v_add_f64 v[140:141], v[26:27], v[24:25]
	v_add_f64 v[152:153], v[16:17], v[20:21]
	v_mul_f64 v[148:149], v[144:145], s[26:27]
	v_mul_f64 v[170:171], v[144:145], s[20:21]
	;; [unrolled: 1-line block ×16, first 2 shown]
	s_waitcnt vmcnt(1)
	v_mul_f64 v[34:35], v[14:15], v[46:47]
	v_mul_f64 v[36:37], v[14:15], v[48:49]
	s_waitcnt vmcnt(0)
	v_mul_f64 v[38:39], v[12:13], v[51:52]
	v_mul_f64 v[40:41], v[12:13], v[53:54]
	ds_read2_b64 v[12:15], v42 offset0:50 offset1:152
	global_load_dwordx4 v[42:45], v50, s[12:13] offset:1488
	s_waitcnt lgkmcnt(0)
	v_fma_f64 v[34:35], v[14:15], v[48:49], v[34:35]
	v_fma_f64 v[36:37], v[14:15], v[46:47], -v[36:37]
	global_load_dwordx4 v[46:49], v50, s[12:13] offset:1504
	v_add_nc_u32_e32 v14, 0x1800, v199
	v_fma_f64 v[38:39], v[12:13], v[53:54], v[38:39]
	v_fma_f64 v[40:41], v[12:13], v[51:52], -v[40:41]
	ds_read2_b64 v[51:54], v14 offset0:150 offset1:252
	s_waitcnt vmcnt(1)
	v_mul_f64 v[12:13], v[8:9], v[42:43]
	v_mul_f64 v[8:9], v[8:9], v[44:45]
	s_waitcnt lgkmcnt(0)
	v_fma_f64 v[12:13], v[51:52], v[44:45], v[12:13]
	v_fma_f64 v[14:15], v[51:52], v[42:43], -v[8:9]
	s_waitcnt vmcnt(0)
	v_mul_f64 v[8:9], v[10:11], v[46:47]
	v_mul_f64 v[10:11], v[10:11], v[48:49]
	v_add_f64 v[120:121], v[34:35], -v[12:13]
	v_add_f64 v[122:123], v[36:37], v[14:15]
	v_fma_f64 v[8:9], v[53:54], v[48:49], v[8:9]
	v_fma_f64 v[10:11], v[53:54], v[46:47], -v[10:11]
	s_clause 0x1
	global_load_dwordx4 v[44:47], v50, s[12:13] offset:1376
	global_load_dwordx4 v[51:54], v50, s[12:13] offset:1360
	ds_read2_b64 v[55:58], v199 offset0:102 offset1:204
	v_add_f64 v[126:127], v[36:37], -v[14:15]
	v_add_f64 v[128:129], v[34:35], v[12:13]
	v_mul_f64 v[124:125], v[120:121], s[30:31]
	v_mul_f64 v[162:163], v[120:121], s[26:27]
	v_add_f64 v[116:117], v[38:39], v[8:9]
	v_add_f64 v[114:115], v[40:41], -v[10:11]
	v_mul_f64 v[130:131], v[126:127], s[30:31]
	v_mul_f64 v[164:165], v[126:127], s[26:27]
	;; [unrolled: 1-line block ×5, first 2 shown]
	s_waitcnt vmcnt(1)
	v_mul_f64 v[42:43], v[6:7], v[44:45]
	v_mul_f64 v[6:7], v[6:7], v[46:47]
	s_waitcnt lgkmcnt(0)
	v_fma_f64 v[42:43], v[57:58], v[46:47], v[42:43]
	v_fma_f64 v[44:45], v[57:58], v[44:45], -v[6:7]
	s_waitcnt vmcnt(0)
	v_mul_f64 v[6:7], v[4:5], v[51:52]
	v_mul_f64 v[4:5], v[4:5], v[53:54]
	v_fma_f64 v[46:47], v[55:56], v[53:54], v[6:7]
	v_fma_f64 v[48:49], v[55:56], v[51:52], -v[4:5]
	s_clause 0x1
	global_load_dwordx4 v[51:54], v50, s[12:13] offset:1520
	global_load_dwordx4 v[55:58], v50, s[12:13] offset:1536
	v_add_nc_u32_e32 v6, 0x2000, v199
	s_mov_b32 s12, 0x93053d00
	s_mov_b32 s13, 0xbfef11f4
	ds_read2_b64 v[59:62], v6 offset0:98 offset1:200
	s_waitcnt vmcnt(1)
	v_mul_f64 v[4:5], v[0:1], v[51:52]
	v_mul_f64 v[0:1], v[0:1], v[53:54]
	s_waitcnt lgkmcnt(0)
	v_fma_f64 v[4:5], v[59:60], v[53:54], v[4:5]
	v_fma_f64 v[6:7], v[59:60], v[51:52], -v[0:1]
	s_waitcnt vmcnt(0)
	v_mul_f64 v[0:1], v[2:3], v[55:56]
	v_mul_f64 v[2:3], v[2:3], v[57:58]
	ds_read_b64 v[50:51], v198
	v_add_f64 v[68:69], v[44:45], -v[6:7]
	v_fma_f64 v[0:1], v[61:62], v[57:58], v[0:1]
	v_fma_f64 v[2:3], v[61:62], v[55:56], -v[2:3]
	v_add_f64 v[60:61], v[42:43], -v[4:5]
	v_mul_f64 v[78:79], v[68:69], s[4:5]
	v_add_f64 v[52:53], v[46:47], -v[0:1]
	v_add_f64 v[54:55], v[48:49], v[2:3]
	v_mul_f64 v[70:71], v[60:61], s[4:5]
	v_mul_f64 v[156:157], v[68:69], s[14:15]
	;; [unrolled: 1-line block ×12, first 2 shown]
	v_fma_f64 v[58:59], v[54:55], s[6:7], -v[56:57]
	v_fma_f64 v[56:57], v[54:55], s[6:7], v[56:57]
	s_waitcnt lgkmcnt(0)
	v_add_f64 v[62:63], v[50:51], v[58:59]
	v_add_f64 v[58:59], v[44:45], v[6:7]
	;; [unrolled: 1-line block ×3, first 2 shown]
	v_fma_f64 v[64:65], v[58:59], s[0:1], -v[70:71]
	v_fma_f64 v[92:93], v[58:59], s[24:25], v[96:97]
	v_fma_f64 v[70:71], v[58:59], s[0:1], v[70:71]
	v_fma_f64 v[96:97], v[58:59], s[24:25], -v[96:97]
	v_add_f64 v[82:83], v[64:65], v[62:63]
	v_add_f64 v[64:65], v[48:49], -v[2:3]
	v_add_f64 v[62:63], v[46:47], v[0:1]
	v_add_f64 v[56:57], v[70:71], v[56:57]
	;; [unrolled: 1-line block ×4, first 2 shown]
	v_mul_f64 v[76:77], v[64:65], s[8:9]
	v_mul_f64 v[174:175], v[64:65], s[4:5]
	;; [unrolled: 1-line block ×4, first 2 shown]
	v_add_f64 v[44:45], v[44:45], v[48:49]
	v_fma_f64 v[66:67], v[62:63], s[6:7], v[76:77]
	v_fma_f64 v[70:71], v[62:63], s[6:7], -v[76:77]
	v_add_f64 v[72:73], v[32:33], v[66:67]
	v_add_f64 v[66:67], v[42:43], v[4:5]
	;; [unrolled: 1-line block ×4, first 2 shown]
	v_mul_f64 v[46:47], v[144:145], s[14:15]
	v_fma_f64 v[74:75], v[66:67], s[0:1], v[78:79]
	v_fma_f64 v[90:91], v[66:67], s[22:23], v[196:197]
	v_fma_f64 v[218:219], v[66:67], s[24:25], -v[216:217]
	v_fma_f64 v[76:77], v[66:67], s[0:1], -v[78:79]
	v_fma_f64 v[48:49], v[146:147], s[12:13], v[46:47]
	v_fma_f64 v[46:47], v[146:147], s[12:13], -v[46:47]
	v_add_f64 v[84:85], v[74:75], v[72:73]
	v_add_f64 v[74:75], v[38:39], -v[8:9]
	v_add_f64 v[72:73], v[40:41], v[10:11]
	v_add_f64 v[70:71], v[76:77], v[70:71]
	;; [unrolled: 1-line block ×4, first 2 shown]
	v_mul_f64 v[42:43], v[68:69], s[8:9]
	v_mul_f64 v[80:81], v[74:75], s[14:15]
	;; [unrolled: 1-line block ×4, first 2 shown]
	v_add_f64 v[34:35], v[34:35], v[38:39]
	v_add_f64 v[36:37], v[36:37], v[40:41]
	s_mov_b32 s27, 0xbfddbe06
	v_fma_f64 v[44:45], v[66:67], s[6:7], -v[42:43]
	v_mul_f64 v[38:39], v[52:53], s[26:27]
	v_fma_f64 v[42:43], v[66:67], s[6:7], v[42:43]
	v_fma_f64 v[86:87], v[72:73], s[12:13], -v[80:81]
	v_fma_f64 v[76:77], v[72:73], s[12:13], v[80:81]
	v_fma_f64 v[80:81], v[152:153], s[24:25], -v[154:155]
	v_add_f64 v[26:27], v[26:27], v[34:35]
	v_mul_f64 v[34:35], v[64:65], s[26:27]
	v_add_f64 v[30:31], v[30:31], v[36:37]
	v_fma_f64 v[40:41], v[54:55], s[24:25], v[38:39]
	v_fma_f64 v[38:39], v[54:55], s[24:25], -v[38:39]
	v_add_f64 v[82:83], v[86:87], v[82:83]
	v_fma_f64 v[86:87], v[116:117], s[12:13], v[118:119]
	v_add_f64 v[56:57], v[76:77], v[56:57]
	v_fma_f64 v[76:77], v[116:117], s[12:13], -v[118:119]
	v_fma_f64 v[36:37], v[62:63], s[24:25], -v[34:35]
	v_add_f64 v[16:17], v[16:17], v[26:27]
	v_fma_f64 v[34:35], v[62:63], s[24:25], v[34:35]
	v_add_f64 v[18:19], v[18:19], v[30:31]
	v_add_f64 v[38:39], v[50:51], v[38:39]
	;; [unrolled: 1-line block ×4, first 2 shown]
	v_fma_f64 v[86:87], v[122:123], s[18:19], -v[124:125]
	v_add_f64 v[70:71], v[76:77], v[70:71]
	v_fma_f64 v[76:77], v[122:123], s[18:19], v[124:125]
	v_add_f64 v[26:27], v[32:33], v[36:37]
	v_add_f64 v[16:17], v[20:21], v[16:17]
	;; [unrolled: 1-line block ×5, first 2 shown]
	v_fma_f64 v[86:87], v[128:129], s[18:19], v[130:131]
	v_add_f64 v[56:57], v[76:77], v[56:57]
	v_fma_f64 v[76:77], v[128:129], s[18:19], -v[130:131]
	v_add_f64 v[26:27], v[44:45], v[26:27]
	v_add_f64 v[16:17], v[24:25], v[16:17]
	v_mul_f64 v[24:25], v[126:127], s[4:5]
	v_add_f64 v[30:31], v[42:43], v[30:31]
	v_add_f64 v[18:19], v[28:29], v[18:19]
	;; [unrolled: 1-line block ×3, first 2 shown]
	v_fma_f64 v[86:87], v[134:135], s[22:23], -v[136:137]
	v_add_f64 v[70:71], v[76:77], v[70:71]
	v_fma_f64 v[76:77], v[134:135], s[22:23], v[136:137]
	v_add_f64 v[12:13], v[12:13], v[16:17]
	v_mul_f64 v[16:17], v[138:139], s[20:21]
	v_add_f64 v[14:15], v[14:15], v[18:19]
	v_add_f64 v[82:83], v[86:87], v[82:83]
	v_fma_f64 v[86:87], v[140:141], s[22:23], v[142:143]
	v_add_f64 v[56:57], v[76:77], v[56:57]
	v_fma_f64 v[76:77], v[140:141], s[22:23], -v[142:143]
	v_fma_f64 v[18:19], v[140:141], s[18:19], -v[16:17]
	v_add_f64 v[8:9], v[8:9], v[12:13]
	v_mul_f64 v[12:13], v[150:151], s[14:15]
	v_fma_f64 v[16:17], v[140:141], s[18:19], v[16:17]
	v_add_f64 v[10:11], v[10:11], v[14:15]
	v_add_f64 v[86:87], v[86:87], v[84:85]
	v_fma_f64 v[84:85], v[146:147], s[24:25], -v[148:149]
	v_add_f64 v[70:71], v[76:77], v[70:71]
	v_fma_f64 v[76:77], v[146:147], s[24:25], v[148:149]
	v_fma_f64 v[14:15], v[152:153], s[12:13], -v[12:13]
	v_fma_f64 v[12:13], v[152:153], s[12:13], v[12:13]
	v_add_f64 v[84:85], v[84:85], v[82:83]
	v_fma_f64 v[82:83], v[152:153], s[24:25], v[154:155]
	v_add_f64 v[78:79], v[76:77], v[56:57]
	v_add_f64 v[76:77], v[80:81], v[70:71]
	v_mul_f64 v[80:81], v[120:121], s[4:5]
	v_mul_f64 v[56:57], v[132:133], s[20:21]
	v_add_f64 v[82:83], v[82:83], v[86:87]
	v_mad_u64_u32 v[86:87], null, s2, v110, 0
	s_mov_b32 s2, s28
	v_fma_f64 v[70:71], v[134:135], s[18:19], v[56:57]
	v_mul_f64 v[106:107], v[52:53], s[2:3]
	v_mul_f64 v[182:183], v[120:121], s[2:3]
	;; [unrolled: 1-line block ×4, first 2 shown]
	v_add3_u32 v87, v87, v89, v88
	v_fma_f64 v[56:57], v[134:135], s[18:19], -v[56:57]
	v_lshlrev_b64 v[86:87], 4, v[86:87]
	v_add_co_u32 v88, vcc_lo, s10, v86
	v_add_co_ci_u32_e32 v89, vcc_lo, s11, v87, vcc_lo
	v_lshlrev_b64 v[86:87], 4, v[108:109]
	v_mul_f64 v[108:109], v[60:61], s[14:15]
	s_mov_b32 s11, 0x3fedeba7
	s_mov_b32 s10, s4
	v_mul_f64 v[60:61], v[60:61], s[8:9]
	v_mul_f64 v[158:159], v[74:75], s[10:11]
	v_add_co_u32 v88, vcc_lo, v88, v86
	v_add_co_ci_u32_e32 v89, vcc_lo, v89, v87, vcc_lo
	v_lshlrev_b64 v[86:87], 4, v[112:113]
	v_mul_f64 v[112:113], v[64:65], s[2:3]
	v_mul_f64 v[160:161], v[114:115], s[10:11]
	s_mov_b32 s11, 0x3fcea1e5
	s_mov_b32 s10, s14
	v_fma_f64 v[22:23], v[116:117], s[22:23], -v[20:21]
	v_add_co_u32 v110, vcc_lo, v88, v86
	v_add_co_ci_u32_e32 v111, vcc_lo, v89, v87, vcc_lo
	v_mul_f64 v[186:187], v[132:133], s[10:11]
	v_add_co_u32 v86, vcc_lo, 0x800, v110
	v_add_co_ci_u32_e32 v87, vcc_lo, 0, v111, vcc_lo
	v_mul_f64 v[188:189], v[138:139], s[10:11]
	v_fma_f64 v[88:89], v[58:59], s[22:23], -v[100:101]
	v_mul_f64 v[202:203], v[120:121], s[10:11]
	global_store_dwordx4 v[86:87], v[82:85], off offset:1216
	v_fma_f64 v[82:83], v[54:55], s[22:23], -v[106:107]
	v_fma_f64 v[84:85], v[58:59], s[12:13], -v[108:109]
	v_fma_f64 v[86:87], v[66:67], s[12:13], v[156:157]
	v_mul_f64 v[204:205], v[126:127], s[10:11]
	v_fma_f64 v[106:107], v[54:55], s[22:23], v[106:107]
	v_fma_f64 v[108:109], v[58:59], s[12:13], v[108:109]
	;; [unrolled: 1-line block ×4, first 2 shown]
	v_add_f64 v[22:23], v[22:23], v[26:27]
	v_fma_f64 v[26:27], v[128:129], s[0:1], -v[24:25]
	v_fma_f64 v[24:25], v[128:129], s[0:1], v[24:25]
	v_add_f64 v[82:83], v[50:51], v[82:83]
	v_add_f64 v[106:107], v[50:51], v[106:107]
	;; [unrolled: 1-line block ×5, first 2 shown]
	v_fma_f64 v[84:85], v[62:63], s[22:23], v[112:113]
	v_add_f64 v[106:107], v[108:109], v[106:107]
	v_fma_f64 v[108:109], v[62:63], s[22:23], -v[112:113]
	v_fma_f64 v[112:113], v[66:67], s[12:13], -v[156:157]
	;; [unrolled: 1-line block ×3, first 2 shown]
	v_add_f64 v[20:21], v[24:25], v[20:21]
	v_add_f64 v[18:19], v[18:19], v[22:23]
	;; [unrolled: 1-line block ×7, first 2 shown]
	v_fma_f64 v[86:87], v[72:73], s[0:1], -v[158:159]
	v_add_f64 v[108:109], v[112:113], v[108:109]
	v_fma_f64 v[112:113], v[72:73], s[0:1], v[158:159]
	v_add_f64 v[2:3], v[2:3], v[20:21]
	v_add_f64 v[82:83], v[86:87], v[82:83]
	v_fma_f64 v[86:87], v[116:117], s[0:1], v[160:161]
	v_add_f64 v[106:107], v[112:113], v[106:107]
	v_fma_f64 v[112:113], v[116:117], s[0:1], -v[160:161]
	v_add_f64 v[84:85], v[86:87], v[84:85]
	v_fma_f64 v[86:87], v[122:123], s[24:25], -v[162:163]
	v_add_f64 v[108:109], v[112:113], v[108:109]
	v_fma_f64 v[112:113], v[122:123], s[24:25], v[162:163]
	v_add_f64 v[82:83], v[86:87], v[82:83]
	v_fma_f64 v[86:87], v[128:129], s[24:25], v[164:165]
	v_add_f64 v[106:107], v[112:113], v[106:107]
	v_fma_f64 v[112:113], v[128:129], s[24:25], -v[164:165]
	v_add_f64 v[84:85], v[86:87], v[84:85]
	v_fma_f64 v[86:87], v[134:135], s[6:7], -v[166:167]
	v_add_f64 v[108:109], v[112:113], v[108:109]
	v_fma_f64 v[112:113], v[134:135], s[6:7], v[166:167]
	;; [unrolled: 8-line block ×3, first 2 shown]
	v_add_f64 v[84:85], v[84:85], v[82:83]
	v_fma_f64 v[82:83], v[152:153], s[18:19], v[172:173]
	v_add_f64 v[108:109], v[108:109], v[106:107]
	v_add_f64 v[106:107], v[156:157], v[112:113]
	v_fma_f64 v[112:113], v[122:123], s[0:1], v[80:81]
	v_fma_f64 v[80:81], v[122:123], s[0:1], -v[80:81]
	v_add_f64 v[82:83], v[82:83], v[86:87]
	v_add_co_u32 v86, vcc_lo, 0x1000, v110
	v_add_co_ci_u32_e32 v87, vcc_lo, 0, v111, vcc_lo
	global_store_dwordx4 v[86:87], v[82:85], off offset:800
	v_fma_f64 v[82:83], v[54:55], s[0:1], -v[102:103]
	v_fma_f64 v[84:85], v[58:59], s[18:19], -v[104:105]
	v_fma_f64 v[86:87], v[66:67], s[18:19], v[176:177]
	v_fma_f64 v[102:103], v[54:55], s[0:1], v[102:103]
	;; [unrolled: 1-line block ×3, first 2 shown]
	v_add_f64 v[82:83], v[50:51], v[82:83]
	v_add_f64 v[102:103], v[50:51], v[102:103]
	;; [unrolled: 1-line block ×3, first 2 shown]
	v_fma_f64 v[84:85], v[62:63], s[0:1], v[174:175]
	v_add_f64 v[102:103], v[104:105], v[102:103]
	v_fma_f64 v[104:105], v[62:63], s[0:1], -v[174:175]
	v_fma_f64 v[174:175], v[66:67], s[18:19], -v[176:177]
	;; [unrolled: 1-line block ×3, first 2 shown]
	v_add_f64 v[84:85], v[32:33], v[84:85]
	v_add_f64 v[104:105], v[32:33], v[104:105]
	;; [unrolled: 1-line block ×3, first 2 shown]
	v_fma_f64 v[86:87], v[72:73], s[24:25], -v[178:179]
	v_add_f64 v[104:105], v[174:175], v[104:105]
	v_fma_f64 v[174:175], v[72:73], s[24:25], v[178:179]
	v_add_f64 v[82:83], v[86:87], v[82:83]
	v_fma_f64 v[86:87], v[116:117], s[24:25], v[180:181]
	v_add_f64 v[102:103], v[174:175], v[102:103]
	v_fma_f64 v[174:175], v[116:117], s[24:25], -v[180:181]
	v_add_f64 v[84:85], v[86:87], v[84:85]
	v_fma_f64 v[86:87], v[122:123], s[22:23], -v[182:183]
	v_add_f64 v[104:105], v[174:175], v[104:105]
	v_fma_f64 v[174:175], v[122:123], s[22:23], v[182:183]
	v_add_f64 v[82:83], v[86:87], v[82:83]
	v_fma_f64 v[86:87], v[128:129], s[22:23], v[184:185]
	v_add_f64 v[102:103], v[174:175], v[102:103]
	v_fma_f64 v[174:175], v[128:129], s[22:23], -v[184:185]
	v_add_f64 v[84:85], v[86:87], v[84:85]
	;; [unrolled: 8-line block ×3, first 2 shown]
	v_fma_f64 v[84:85], v[146:147], s[6:7], -v[190:191]
	v_add_f64 v[174:175], v[174:175], v[104:105]
	v_fma_f64 v[104:105], v[146:147], s[6:7], v[190:191]
	v_add_f64 v[84:85], v[84:85], v[82:83]
	v_fma_f64 v[82:83], v[152:153], s[6:7], v[192:193]
	v_add_f64 v[104:105], v[104:105], v[102:103]
	v_add_f64 v[102:103], v[176:177], v[174:175]
	;; [unrolled: 1-line block ×3, first 2 shown]
	v_fma_f64 v[86:87], v[54:55], s[18:19], -v[98:99]
	v_fma_f64 v[98:99], v[54:55], s[18:19], v[98:99]
	v_add_f64 v[86:87], v[50:51], v[86:87]
	v_add_f64 v[98:99], v[50:51], v[98:99]
	;; [unrolled: 1-line block ×3, first 2 shown]
	v_fma_f64 v[88:89], v[62:63], s[18:19], v[194:195]
	v_add_f64 v[98:99], v[100:101], v[98:99]
	v_fma_f64 v[100:101], v[62:63], s[18:19], -v[194:195]
	v_fma_f64 v[194:195], v[66:67], s[22:23], -v[196:197]
	;; [unrolled: 1-line block ×3, first 2 shown]
	v_add_f64 v[88:89], v[32:33], v[88:89]
	v_add_f64 v[100:101], v[32:33], v[100:101]
	v_add_f64 v[88:89], v[90:91], v[88:89]
	v_fma_f64 v[90:91], v[72:73], s[6:7], -v[198:199]
	v_add_f64 v[100:101], v[194:195], v[100:101]
	v_fma_f64 v[194:195], v[72:73], s[6:7], v[198:199]
	v_add_f64 v[86:87], v[90:91], v[86:87]
	v_fma_f64 v[90:91], v[116:117], s[6:7], v[200:201]
	v_add_f64 v[98:99], v[194:195], v[98:99]
	v_fma_f64 v[194:195], v[116:117], s[6:7], -v[200:201]
	v_add_f64 v[88:89], v[90:91], v[88:89]
	v_fma_f64 v[90:91], v[122:123], s[12:13], -v[202:203]
	v_add_f64 v[100:101], v[194:195], v[100:101]
	v_fma_f64 v[194:195], v[122:123], s[12:13], v[202:203]
	v_add_f64 v[86:87], v[90:91], v[86:87]
	v_fma_f64 v[90:91], v[128:129], s[12:13], v[204:205]
	v_add_f64 v[98:99], v[194:195], v[98:99]
	v_fma_f64 v[194:195], v[128:129], s[12:13], -v[204:205]
	v_add_f64 v[88:89], v[90:91], v[88:89]
	;; [unrolled: 8-line block ×3, first 2 shown]
	v_fma_f64 v[88:89], v[146:147], s[0:1], -v[210:211]
	v_add_f64 v[194:195], v[194:195], v[100:101]
	v_fma_f64 v[100:101], v[146:147], s[0:1], v[210:211]
	v_add_f64 v[88:89], v[88:89], v[86:87]
	v_fma_f64 v[86:87], v[152:153], s[0:1], v[212:213]
	v_add_f64 v[100:101], v[100:101], v[98:99]
	v_add_f64 v[98:99], v[196:197], v[194:195]
	;; [unrolled: 1-line block ×3, first 2 shown]
	v_fma_f64 v[90:91], v[54:55], s[12:13], v[94:95]
	v_fma_f64 v[94:95], v[54:55], s[12:13], -v[94:95]
	v_add_f64 v[90:91], v[50:51], v[90:91]
	v_add_f64 v[94:95], v[50:51], v[94:95]
	;; [unrolled: 1-line block ×3, first 2 shown]
	v_fma_f64 v[92:93], v[62:63], s[12:13], -v[214:215]
	v_add_f64 v[94:95], v[96:97], v[94:95]
	v_fma_f64 v[96:97], v[62:63], s[12:13], v[214:215]
	v_fma_f64 v[214:215], v[66:67], s[24:25], v[216:217]
	;; [unrolled: 1-line block ×3, first 2 shown]
	v_add_f64 v[92:93], v[32:33], v[92:93]
	v_add_f64 v[96:97], v[32:33], v[96:97]
	;; [unrolled: 1-line block ×3, first 2 shown]
	v_mul_f64 v[218:219], v[74:75], s[20:21]
	v_add_f64 v[96:97], v[214:215], v[96:97]
	v_mul_f64 v[74:75], v[74:75], s[2:3]
	v_fma_f64 v[220:221], v[72:73], s[18:19], v[218:219]
	v_fma_f64 v[214:215], v[72:73], s[18:19], -v[218:219]
	v_fma_f64 v[118:119], v[72:73], s[22:23], v[74:75]
	v_fma_f64 v[72:73], v[72:73], s[22:23], -v[74:75]
	;; [unrolled: 2-line block ×3, first 2 shown]
	v_add_f64 v[90:91], v[220:221], v[90:91]
	v_mul_f64 v[220:221], v[114:115], s[20:21]
	v_add_f64 v[94:95], v[214:215], v[94:95]
	v_add_f64 v[32:33], v[74:75], v[40:41]
	;; [unrolled: 1-line block ×3, first 2 shown]
	v_fma_f64 v[222:223], v[116:117], s[18:19], -v[220:221]
	v_fma_f64 v[214:215], v[116:117], s[18:19], v[220:221]
	v_add_f64 v[32:33], v[118:119], v[32:33]
	v_add_f64 v[28:29], v[72:73], v[34:35]
	;; [unrolled: 1-line block ×3, first 2 shown]
	v_mul_f64 v[222:223], v[120:121], s[16:17]
	v_add_f64 v[96:97], v[214:215], v[96:97]
	v_add_f64 v[30:31], v[112:113], v[32:33]
	v_add_f64 v[26:27], v[80:81], v[28:29]
	v_add_co_u32 v28, vcc_lo, 0x1800, v110
	v_add_co_ci_u32_e32 v29, vcc_lo, 0, v111, vcc_lo
	v_fma_f64 v[224:225], v[122:123], s[6:7], v[222:223]
	v_fma_f64 v[214:215], v[122:123], s[6:7], -v[222:223]
	v_add_f64 v[24:25], v[70:71], v[30:31]
	v_add_f64 v[22:23], v[56:57], v[26:27]
	;; [unrolled: 1-line block ×4, first 2 shown]
	v_add_co_u32 v14, vcc_lo, 0x2000, v110
	v_add_co_ci_u32_e32 v15, vcc_lo, 0, v111, vcc_lo
	v_add_co_u32 v18, vcc_lo, 0x2800, v110
	v_add_f64 v[8:9], v[12:13], v[16:17]
	v_add_co_ci_u32_e32 v19, vcc_lo, 0, v111, vcc_lo
	v_add_co_u32 v12, vcc_lo, 0x3000, v110
	v_add_co_ci_u32_e32 v13, vcc_lo, 0, v111, vcc_lo
	v_add_co_u32 v16, vcc_lo, 0x3800, v110
	v_add_co_ci_u32_e32 v17, vcc_lo, 0, v111, vcc_lo
	v_add_f64 v[90:91], v[224:225], v[90:91]
	v_mul_f64 v[224:225], v[126:127], s[16:17]
	v_add_f64 v[94:95], v[214:215], v[94:95]
	v_add_f64 v[10:11], v[46:47], v[22:23]
	;; [unrolled: 1-line block ×4, first 2 shown]
	v_add_co_u32 v20, vcc_lo, 0x4000, v110
	v_add_co_ci_u32_e32 v21, vcc_lo, 0, v111, vcc_lo
	v_add_co_u32 v22, vcc_lo, 0x4800, v110
	v_add_co_ci_u32_e32 v23, vcc_lo, 0, v111, vcc_lo
	v_fma_f64 v[226:227], v[128:129], s[6:7], -v[224:225]
	v_fma_f64 v[214:215], v[128:129], s[6:7], v[224:225]
	v_add_f64 v[92:93], v[226:227], v[92:93]
	v_mul_f64 v[226:227], v[132:133], s[4:5]
	v_add_f64 v[96:97], v[214:215], v[96:97]
	v_fma_f64 v[228:229], v[134:135], s[0:1], v[226:227]
	v_fma_f64 v[214:215], v[134:135], s[0:1], -v[226:227]
	v_add_f64 v[90:91], v[228:229], v[90:91]
	v_mul_f64 v[228:229], v[138:139], s[4:5]
	v_add_f64 v[94:95], v[214:215], v[94:95]
	v_fma_f64 v[230:231], v[140:141], s[0:1], -v[228:229]
	v_fma_f64 v[214:215], v[140:141], s[0:1], v[228:229]
	v_add_f64 v[230:231], v[230:231], v[92:93]
	v_fma_f64 v[92:93], v[146:147], s[22:23], v[232:233]
	v_add_f64 v[214:215], v[214:215], v[96:97]
	v_fma_f64 v[96:97], v[146:147], s[22:23], -v[232:233]
	v_add_f64 v[92:93], v[92:93], v[90:91]
	v_fma_f64 v[90:91], v[152:153], s[22:23], -v[234:235]
	v_add_f64 v[96:97], v[96:97], v[94:95]
	v_add_f64 v[94:95], v[216:217], v[214:215]
	;; [unrolled: 1-line block ×3, first 2 shown]
	global_store_dwordx4 v[28:29], v[82:85], off offset:384
	global_store_dwordx4 v[28:29], v[86:89], off offset:2016
	global_store_dwordx4 v[14:15], v[94:97], off offset:1600
	global_store_dwordx4 v[18:19], v[90:93], off offset:1184
	global_store_dwordx4 v[12:13], v[98:101], off offset:768
	global_store_dwordx4 v[16:17], v[102:105], off offset:352
	global_store_dwordx4 v[16:17], v[106:109], off offset:1984
	global_store_dwordx4 v[20:21], v[76:79], off offset:1568
	global_store_dwordx4 v[110:111], v[8:11], off offset:1632
	global_store_dwordx4 v[110:111], v[0:3], off
	global_store_dwordx4 v[22:23], v[4:7], off offset:1152
.LBB0_27:
	s_endpgm
	.section	.rodata,"a",@progbits
	.p2align	6, 0x0
	.amdhsa_kernel fft_rtc_back_len1326_factors_17_6_13_wgs_204_tpt_102_halfLds_dp_op_CI_CI_unitstride_sbrr_dirReg
		.amdhsa_group_segment_fixed_size 0
		.amdhsa_private_segment_fixed_size 0
		.amdhsa_kernarg_size 104
		.amdhsa_user_sgpr_count 6
		.amdhsa_user_sgpr_private_segment_buffer 1
		.amdhsa_user_sgpr_dispatch_ptr 0
		.amdhsa_user_sgpr_queue_ptr 0
		.amdhsa_user_sgpr_kernarg_segment_ptr 1
		.amdhsa_user_sgpr_dispatch_id 0
		.amdhsa_user_sgpr_flat_scratch_init 0
		.amdhsa_user_sgpr_private_segment_size 0
		.amdhsa_wavefront_size32 1
		.amdhsa_uses_dynamic_stack 0
		.amdhsa_system_sgpr_private_segment_wavefront_offset 0
		.amdhsa_system_sgpr_workgroup_id_x 1
		.amdhsa_system_sgpr_workgroup_id_y 0
		.amdhsa_system_sgpr_workgroup_id_z 0
		.amdhsa_system_sgpr_workgroup_info 0
		.amdhsa_system_vgpr_workitem_id 0
		.amdhsa_next_free_vgpr 253
		.amdhsa_next_free_sgpr 58
		.amdhsa_reserve_vcc 1
		.amdhsa_reserve_flat_scratch 0
		.amdhsa_float_round_mode_32 0
		.amdhsa_float_round_mode_16_64 0
		.amdhsa_float_denorm_mode_32 3
		.amdhsa_float_denorm_mode_16_64 3
		.amdhsa_dx10_clamp 1
		.amdhsa_ieee_mode 1
		.amdhsa_fp16_overflow 0
		.amdhsa_workgroup_processor_mode 1
		.amdhsa_memory_ordered 1
		.amdhsa_forward_progress 0
		.amdhsa_shared_vgpr_count 0
		.amdhsa_exception_fp_ieee_invalid_op 0
		.amdhsa_exception_fp_denorm_src 0
		.amdhsa_exception_fp_ieee_div_zero 0
		.amdhsa_exception_fp_ieee_overflow 0
		.amdhsa_exception_fp_ieee_underflow 0
		.amdhsa_exception_fp_ieee_inexact 0
		.amdhsa_exception_int_div_zero 0
	.end_amdhsa_kernel
	.text
.Lfunc_end0:
	.size	fft_rtc_back_len1326_factors_17_6_13_wgs_204_tpt_102_halfLds_dp_op_CI_CI_unitstride_sbrr_dirReg, .Lfunc_end0-fft_rtc_back_len1326_factors_17_6_13_wgs_204_tpt_102_halfLds_dp_op_CI_CI_unitstride_sbrr_dirReg
                                        ; -- End function
	.section	.AMDGPU.csdata,"",@progbits
; Kernel info:
; codeLenInByte = 16220
; NumSgprs: 60
; NumVgprs: 253
; ScratchSize: 0
; MemoryBound: 1
; FloatMode: 240
; IeeeMode: 1
; LDSByteSize: 0 bytes/workgroup (compile time only)
; SGPRBlocks: 7
; VGPRBlocks: 31
; NumSGPRsForWavesPerEU: 60
; NumVGPRsForWavesPerEU: 253
; Occupancy: 4
; WaveLimiterHint : 1
; COMPUTE_PGM_RSRC2:SCRATCH_EN: 0
; COMPUTE_PGM_RSRC2:USER_SGPR: 6
; COMPUTE_PGM_RSRC2:TRAP_HANDLER: 0
; COMPUTE_PGM_RSRC2:TGID_X_EN: 1
; COMPUTE_PGM_RSRC2:TGID_Y_EN: 0
; COMPUTE_PGM_RSRC2:TGID_Z_EN: 0
; COMPUTE_PGM_RSRC2:TIDIG_COMP_CNT: 0
	.text
	.p2alignl 6, 3214868480
	.fill 48, 4, 3214868480
	.type	__hip_cuid_17d317ad3cd54e05,@object ; @__hip_cuid_17d317ad3cd54e05
	.section	.bss,"aw",@nobits
	.globl	__hip_cuid_17d317ad3cd54e05
__hip_cuid_17d317ad3cd54e05:
	.byte	0                               ; 0x0
	.size	__hip_cuid_17d317ad3cd54e05, 1

	.ident	"AMD clang version 19.0.0git (https://github.com/RadeonOpenCompute/llvm-project roc-6.4.0 25133 c7fe45cf4b819c5991fe208aaa96edf142730f1d)"
	.section	".note.GNU-stack","",@progbits
	.addrsig
	.addrsig_sym __hip_cuid_17d317ad3cd54e05
	.amdgpu_metadata
---
amdhsa.kernels:
  - .args:
      - .actual_access:  read_only
        .address_space:  global
        .offset:         0
        .size:           8
        .value_kind:     global_buffer
      - .offset:         8
        .size:           8
        .value_kind:     by_value
      - .actual_access:  read_only
        .address_space:  global
        .offset:         16
        .size:           8
        .value_kind:     global_buffer
      - .actual_access:  read_only
        .address_space:  global
        .offset:         24
        .size:           8
        .value_kind:     global_buffer
      - .actual_access:  read_only
        .address_space:  global
        .offset:         32
        .size:           8
        .value_kind:     global_buffer
      - .offset:         40
        .size:           8
        .value_kind:     by_value
      - .actual_access:  read_only
        .address_space:  global
        .offset:         48
        .size:           8
        .value_kind:     global_buffer
      - .actual_access:  read_only
        .address_space:  global
        .offset:         56
        .size:           8
        .value_kind:     global_buffer
      - .offset:         64
        .size:           4
        .value_kind:     by_value
      - .actual_access:  read_only
        .address_space:  global
        .offset:         72
        .size:           8
        .value_kind:     global_buffer
      - .actual_access:  read_only
        .address_space:  global
        .offset:         80
        .size:           8
        .value_kind:     global_buffer
      - .actual_access:  read_only
        .address_space:  global
        .offset:         88
        .size:           8
        .value_kind:     global_buffer
      - .actual_access:  write_only
        .address_space:  global
        .offset:         96
        .size:           8
        .value_kind:     global_buffer
    .group_segment_fixed_size: 0
    .kernarg_segment_align: 8
    .kernarg_segment_size: 104
    .language:       OpenCL C
    .language_version:
      - 2
      - 0
    .max_flat_workgroup_size: 204
    .name:           fft_rtc_back_len1326_factors_17_6_13_wgs_204_tpt_102_halfLds_dp_op_CI_CI_unitstride_sbrr_dirReg
    .private_segment_fixed_size: 0
    .sgpr_count:     60
    .sgpr_spill_count: 0
    .symbol:         fft_rtc_back_len1326_factors_17_6_13_wgs_204_tpt_102_halfLds_dp_op_CI_CI_unitstride_sbrr_dirReg.kd
    .uniform_work_group_size: 1
    .uses_dynamic_stack: false
    .vgpr_count:     253
    .vgpr_spill_count: 0
    .wavefront_size: 32
    .workgroup_processor_mode: 1
amdhsa.target:   amdgcn-amd-amdhsa--gfx1030
amdhsa.version:
  - 1
  - 2
...

	.end_amdgpu_metadata
